;; amdgpu-corpus repo=ROCm/rocFFT kind=compiled arch=gfx1100 opt=O3
	.text
	.amdgcn_target "amdgcn-amd-amdhsa--gfx1100"
	.amdhsa_code_object_version 6
	.protected	bluestein_single_back_len4000_dim1_sp_op_CI_CI ; -- Begin function bluestein_single_back_len4000_dim1_sp_op_CI_CI
	.globl	bluestein_single_back_len4000_dim1_sp_op_CI_CI
	.p2align	8
	.type	bluestein_single_back_len4000_dim1_sp_op_CI_CI,@function
bluestein_single_back_len4000_dim1_sp_op_CI_CI: ; @bluestein_single_back_len4000_dim1_sp_op_CI_CI
; %bb.0:
	s_load_b128 s[16:19], s[0:1], 0x28
	v_mul_u32_u24_e32 v1, 0x148, v0
	s_mov_b32 s2, exec_lo
	v_mov_b32_e32 v93, 0
	s_delay_alu instid0(VALU_DEP_2) | instskip(NEXT) | instid1(VALU_DEP_1)
	v_lshrrev_b32_e32 v1, 16, v1
	v_add_nc_u32_e32 v92, s15, v1
	s_waitcnt lgkmcnt(0)
	s_delay_alu instid0(VALU_DEP_1)
	v_cmpx_gt_u64_e64 s[16:17], v[92:93]
	s_cbranch_execz .LBB0_2
; %bb.1:
	s_clause 0x1
	s_load_b128 s[4:7], s[0:1], 0x18
	s_load_b128 s[8:11], s[0:1], 0x0
	v_mul_lo_u16 v1, 0xc8, v1
	s_load_b64 s[0:1], s[0:1], 0x38
	s_delay_alu instid0(VALU_DEP_1) | instskip(NEXT) | instid1(VALU_DEP_1)
	v_sub_nc_u16 v68, v0, v1
	v_and_b32_e32 v151, 0xffff, v68
	s_waitcnt lgkmcnt(0)
	s_load_b128 s[12:15], s[4:5], 0x0
	s_waitcnt lgkmcnt(0)
	v_mad_u64_u32 v[6:7], null, s14, v92, 0
	v_mad_u64_u32 v[8:9], null, s12, v151, 0
	s_mul_hi_u32 s3, s12, 0xc80
	s_mul_i32 s4, s12, 0xc80
	s_delay_alu instid0(VALU_DEP_1) | instskip(NEXT) | instid1(VALU_DEP_1)
	v_mad_u64_u32 v[16:17], null, s15, v92, v[7:8]
	v_dual_mov_b32 v7, v16 :: v_dual_lshlrev_b32 v152, 3, v151
	s_delay_alu instid0(VALU_DEP_1) | instskip(NEXT) | instid1(VALU_DEP_1)
	v_add_co_u32 v86, s2, s8, v152
	v_add_co_ci_u32_e64 v87, null, s9, 0, s2
	s_delay_alu instid0(VALU_DEP_3) | instskip(NEXT) | instid1(VALU_DEP_3)
	v_lshlrev_b64 v[6:7], 3, v[6:7]
	v_add_co_u32 v0, vcc_lo, 0x1000, v86
	s_delay_alu instid0(VALU_DEP_3)
	v_add_co_ci_u32_e32 v1, vcc_lo, 0, v87, vcc_lo
	v_add_co_u32 v2, vcc_lo, 0x2000, v86
	v_add_co_ci_u32_e32 v3, vcc_lo, 0, v87, vcc_lo
	v_add_co_u32 v4, vcc_lo, 0x3000, v86
	;; [unrolled: 2-line block ×4, first 2 shown]
	s_delay_alu instid0(VALU_DEP_3) | instskip(SKIP_3) | instid1(VALU_DEP_4)
	v_mad_u64_u32 v[17:18], null, s13, v151, v[9:10]
	v_add_co_ci_u32_e32 v13, vcc_lo, 0, v87, vcc_lo
	v_add_co_u32 v14, vcc_lo, 0x6000, v86
	v_add_co_ci_u32_e32 v15, vcc_lo, 0, v87, vcc_lo
	v_dual_mov_b32 v9, v17 :: v_dual_add_nc_u32 v156, 0x3200, v152
	v_add_co_u32 v84, vcc_lo, 0x7000, v86
	v_add_co_ci_u32_e32 v85, vcc_lo, 0, v87, vcc_lo
	s_delay_alu instid0(VALU_DEP_3) | instskip(SKIP_3) | instid1(VALU_DEP_2)
	v_lshlrev_b64 v[8:9], 3, v[8:9]
	v_add_co_u32 v6, vcc_lo, s18, v6
	v_add_co_ci_u32_e32 v7, vcc_lo, s19, v7, vcc_lo
	s_mul_i32 s2, s13, 0xc80
	v_add_co_u32 v6, vcc_lo, v6, v8
	s_delay_alu instid0(VALU_DEP_2) | instskip(SKIP_1) | instid1(VALU_DEP_2)
	v_add_co_ci_u32_e32 v7, vcc_lo, v7, v9, vcc_lo
	s_add_i32 s3, s3, s2
	v_add_co_u32 v8, vcc_lo, v6, s4
	s_delay_alu instid0(VALU_DEP_2)
	v_add_co_ci_u32_e32 v9, vcc_lo, s3, v7, vcc_lo
	global_load_b64 v[99:100], v152, s[8:9]
	v_add_co_u32 v16, vcc_lo, v8, s4
	v_add_co_ci_u32_e32 v17, vcc_lo, s3, v9, vcc_lo
	s_clause 0xa
	global_load_b64 v[121:122], v152, s[8:9] offset:3200
	global_load_b64 v[93:94], v152, s[8:9] offset:1600
	global_load_b64 v[123:124], v[2:3], off offset:1408
	global_load_b64 v[125:126], v[4:5], off offset:512
	;; [unrolled: 1-line block ×9, first 2 shown]
	v_add_co_u32 v0, vcc_lo, v16, s4
	v_add_co_ci_u32_e32 v1, vcc_lo, s3, v17, vcc_lo
	global_load_b64 v[6:7], v[6:7], off
	v_add_co_u32 v18, vcc_lo, v0, s4
	v_add_co_ci_u32_e32 v19, vcc_lo, s3, v1, vcc_lo
	s_clause 0x1
	global_load_b64 v[8:9], v[8:9], off
	global_load_b64 v[16:17], v[16:17], off
	v_add_co_u32 v20, vcc_lo, v18, s4
	v_add_co_ci_u32_e32 v21, vcc_lo, s3, v19, vcc_lo
	s_clause 0x1
	global_load_b64 v[0:1], v[0:1], off
	global_load_b64 v[18:19], v[18:19], off
	v_add_co_u32 v22, vcc_lo, v20, s4
	v_add_co_ci_u32_e32 v23, vcc_lo, s3, v21, vcc_lo
	global_load_b64 v[20:21], v[20:21], off
	v_add_co_u32 v24, vcc_lo, v22, s4
	v_add_co_ci_u32_e32 v25, vcc_lo, s3, v23, vcc_lo
	global_load_b64 v[22:23], v[22:23], off
	v_add_co_u32 v26, vcc_lo, v24, s4
	v_add_co_ci_u32_e32 v27, vcc_lo, s3, v25, vcc_lo
	s_clause 0x2
	global_load_b64 v[103:104], v[2:3], off offset:3008
	global_load_b64 v[109:110], v[4:5], off offset:2112
	;; [unrolled: 1-line block ×3, first 2 shown]
	v_add_co_u32 v28, vcc_lo, v26, s4
	v_add_co_ci_u32_e32 v29, vcc_lo, s3, v27, vcc_lo
	s_mul_i32 s2, s13, 0xffff95c0
	global_load_b64 v[4:5], v[24:25], off
	s_clause 0x1
	global_load_b64 v[129:130], v[12:13], off offset:1920
	global_load_b64 v[97:98], v[12:13], off offset:3520
	s_sub_i32 s2, s2, s12
	v_mad_u64_u32 v[2:3], null, 0xffff95c0, s12, v[28:29]
	global_load_b64 v[113:114], v[12:13], off offset:320
	global_load_b64 v[10:11], v[26:27], off
	global_load_b64 v[24:25], v[28:29], off
	v_add_nc_u32_e32 v154, 0x4a00, v152
	v_add_nc_u32_e32 v160, 0x2400, v152
	;; [unrolled: 1-line block ×4, first 2 shown]
	v_add_co_u32 v12, vcc_lo, v2, s4
	v_add_nc_u32_e32 v161, 0xc00, v152
	v_add_nc_u32_e32 v159, 0x3e00, v152
	s_delay_alu instid0(VALU_DEP_4) | instskip(NEXT) | instid1(VALU_DEP_4)
	v_add_co_ci_u32_e32 v13, vcc_lo, s3, v3, vcc_lo
	v_add_co_u32 v26, vcc_lo, v12, s4
	global_load_b64 v[2:3], v[2:3], off
	v_add_co_ci_u32_e32 v27, vcc_lo, s3, v13, vcc_lo
	v_add_co_u32 v28, vcc_lo, v26, s4
	global_load_b64 v[12:13], v[12:13], off
	;; [unrolled: 3-line block ×5, first 2 shown]
	v_add_co_ci_u32_e32 v35, vcc_lo, s3, v33, vcc_lo
	global_load_b64 v[32:33], v[32:33], off
	v_add_co_u32 v36, vcc_lo, v34, s4
	v_add_co_ci_u32_e32 v37, vcc_lo, s3, v35, vcc_lo
	global_load_b64 v[34:35], v[34:35], off
	v_add_co_u32 v38, vcc_lo, v36, s4
	;; [unrolled: 3-line block ×3, first 2 shown]
	v_add_co_ci_u32_e32 v41, vcc_lo, s3, v39, vcc_lo
	global_load_b64 v[111:112], v[14:15], off offset:2624
	global_load_b64 v[14:15], v[38:39], off
	global_load_b64 v[115:116], v[84:85], off offset:1728
	global_load_b64 v[38:39], v[40:41], off
	s_load_b128 s[4:7], s[6:7], 0x0
	v_cmp_gt_u16_e32 vcc_lo, 0x64, v68
	v_add_nc_u32_e32 v155, 0x7000, v152
	v_add_nc_u32_e32 v242, 0x1200, v152
	;; [unrolled: 1-line block ×5, first 2 shown]
	s_waitcnt vmcnt(27)
	v_mul_f32_e32 v40, v7, v100
	v_add_nc_u32_e32 v157, 0x1800, v152
	s_waitcnt vmcnt(26)
	v_dual_mul_f32 v41, v6, v100 :: v_dual_mul_f32 v42, v9, v122
	s_delay_alu instid0(VALU_DEP_3) | instskip(SKIP_2) | instid1(VALU_DEP_3)
	v_fmac_f32_e32 v40, v6, v99
	s_waitcnt vmcnt(25)
	v_dual_mul_f32 v6, v17, v132 :: v_dual_mul_f32 v43, v8, v122
	v_dual_fmac_f32 v42, v8, v121 :: v_dual_add_nc_u32 v153, 0x6400, v152
	s_waitcnt vmcnt(24)
	v_mul_f32_e32 v8, v1, v124
	s_delay_alu instid0(VALU_DEP_3)
	v_fmac_f32_e32 v6, v16, v131
	v_fma_f32 v41, v7, v99, -v41
	s_waitcnt vmcnt(23)
	v_dual_mul_f32 v7, v16, v132 :: v_dual_mul_f32 v16, v19, v126
	v_fma_f32 v43, v9, v121, -v43
	v_dual_mul_f32 v9, v0, v124 :: v_dual_mul_f32 v44, v18, v126
	s_delay_alu instid0(VALU_DEP_3) | instskip(SKIP_2) | instid1(VALU_DEP_4)
	v_fma_f32 v7, v17, v131, -v7
	v_fmac_f32_e32 v8, v0, v123
	v_fmac_f32_e32 v16, v18, v125
	v_fma_f32 v9, v1, v123, -v9
	s_waitcnt vmcnt(22)
	v_mul_f32_e32 v1, v20, v128
	v_fma_f32 v17, v19, v125, -v44
	v_mul_f32_e32 v0, v21, v128
	s_waitcnt vmcnt(21)
	v_mul_f32_e32 v18, v23, v120
	ds_store_b64 v152, v[42:43] offset:3200
	ds_store_b64 v152, v[6:7] offset:6400
	;; [unrolled: 1-line block ×4, first 2 shown]
	v_mul_f32_e32 v7, v22, v120
	v_fma_f32 v1, v21, v127, -v1
	v_fmac_f32_e32 v0, v20, v127
	v_fmac_f32_e32 v18, v22, v119
	s_waitcnt vmcnt(16)
	v_mul_f32_e32 v6, v5, v130
	v_mul_f32_e32 v9, v4, v130
	v_fma_f32 v19, v23, v119, -v7
	s_delay_alu instid0(VALU_DEP_3)
	v_fmac_f32_e32 v6, v4, v129
	s_waitcnt vmcnt(13)
	v_mul_f32_e32 v16, v10, v118
	v_mul_f32_e32 v8, v11, v118
	s_waitcnt vmcnt(12)
	v_mul_f32_e32 v4, v25, v108
	v_mul_f32_e32 v17, v24, v108
	v_fma_f32 v7, v5, v129, -v9
	v_fma_f32 v9, v11, v117, -v16
	v_fmac_f32_e32 v8, v10, v117
	s_delay_alu instid0(VALU_DEP_4) | instskip(SKIP_3) | instid1(VALU_DEP_2)
	v_fma_f32 v5, v25, v107, -v17
	s_waitcnt vmcnt(11)
	v_mul_f32_e32 v11, v2, v94
	v_mul_f32_e32 v10, v3, v94
	v_fma_f32 v11, v3, v93, -v11
	s_delay_alu instid0(VALU_DEP_2)
	v_fmac_f32_e32 v10, v2, v93
	s_waitcnt vmcnt(9)
	v_mul_f32_e32 v3, v26, v96
	ds_store_b64 v152, v[0:1] offset:16000
	ds_store_b64 v152, v[18:19] offset:19200
	;; [unrolled: 1-line block ×4, first 2 shown]
	v_mul_f32_e32 v0, v13, v106
	v_dual_mul_f32 v1, v12, v106 :: v_dual_mul_f32 v2, v27, v96
	v_fma_f32 v3, v27, v95, -v3
	s_delay_alu instid0(VALU_DEP_3) | instskip(NEXT) | instid1(VALU_DEP_3)
	v_fmac_f32_e32 v0, v12, v105
	v_fma_f32 v1, v13, v105, -v1
	s_delay_alu instid0(VALU_DEP_4)
	v_fmac_f32_e32 v2, v26, v95
	s_waitcnt vmcnt(7)
	v_mul_f32_e32 v6, v31, v110
	v_mul_f32_e32 v7, v30, v110
	s_waitcnt vmcnt(6)
	v_mul_f32_e32 v9, v32, v102
	v_fmac_f32_e32 v4, v24, v107
	v_fmac_f32_e32 v6, v30, v109
	v_fma_f32 v7, v31, v109, -v7
	v_mul_f32_e32 v8, v33, v102
	v_fma_f32 v9, v33, v101, -v9
	ds_store_b64 v152, v[4:5] offset:28800
	v_mul_f32_e32 v4, v29, v104
	v_mul_f32_e32 v5, v28, v104
	ds_store_2addr_b64 v152, v[40:41], v[10:11] offset1:200
	v_fmac_f32_e32 v8, v32, v101
	v_fmac_f32_e32 v4, v28, v103
	v_fma_f32 v5, v29, v103, -v5
	ds_store_b64 v152, v[0:1] offset:4800
	ds_store_b64 v152, v[2:3] offset:8000
	;; [unrolled: 1-line block ×4, first 2 shown]
	s_waitcnt vmcnt(5)
	v_mul_f32_e32 v0, v35, v114
	v_mul_f32_e32 v1, v34, v114
	s_waitcnt vmcnt(4)
	v_mul_f32_e32 v2, v37, v98
	s_waitcnt vmcnt(2)
	v_dual_mul_f32 v3, v36, v98 :: v_dual_mul_f32 v4, v15, v112
	v_mul_f32_e32 v5, v14, v112
	s_waitcnt vmcnt(0)
	v_mul_f32_e32 v6, v39, v116
	v_mul_f32_e32 v7, v38, v116
	v_fmac_f32_e32 v0, v34, v113
	v_fma_f32 v1, v35, v113, -v1
	v_fmac_f32_e32 v2, v36, v97
	v_fma_f32 v3, v37, v97, -v3
	;; [unrolled: 2-line block ×4, first 2 shown]
	ds_store_b64 v152, v[8:9] offset:17600
	ds_store_b64 v152, v[0:1] offset:20800
	ds_store_b64 v152, v[2:3] offset:24000
	ds_store_b64 v152, v[4:5] offset:27200
	ds_store_b64 v152, v[6:7] offset:30400
	s_waitcnt lgkmcnt(0)
	s_barrier
	buffer_gl0_inv
	ds_load_2addr_b64 v[0:3], v152 offset1:200
	ds_load_2addr_b64 v[8:11], v157 offset0:32 offset1:232
	ds_load_2addr_b64 v[12:15], v156 offset1:200
	ds_load_2addr_b64 v[16:19], v154 offset0:32 offset1:232
	;; [unrolled: 2-line block ×3, first 2 shown]
	ds_load_2addr_b64 v[24:27], v160 offset0:48 offset1:248
	ds_load_2addr_b64 v[28:31], v159 offset0:16 offset1:216
	;; [unrolled: 1-line block ×4, first 2 shown]
	v_add_co_u32 v36, null, 0xc8, v151
	s_waitcnt lgkmcnt(0)
	s_barrier
	buffer_gl0_inv
	v_add_f32_e32 v41, v0, v8
	v_sub_f32_e32 v45, v8, v12
	v_dual_add_f32 v42, v12, v16 :: v_dual_sub_f32 v77, v15, v19
	v_add_f32_e32 v47, v8, v20
	v_sub_f32_e32 v43, v9, v21
	v_dual_sub_f32 v44, v13, v17 :: v_dual_sub_f32 v79, v22, v18
	v_dual_sub_f32 v46, v20, v16 :: v_dual_sub_f32 v81, v14, v10
	v_dual_sub_f32 v48, v12, v8 :: v_dual_add_f32 v83, v3, v11
	v_dual_sub_f32 v49, v16, v20 :: v_dual_add_f32 v50, v1, v9
	v_sub_f32_e32 v89, v14, v18
	v_dual_add_f32 v51, v13, v17 :: v_dual_sub_f32 v52, v12, v16
	v_add_f32_e32 v133, v11, v23
	v_sub_f32_e32 v53, v9, v13
	v_add_f32_e32 v55, v9, v21
	v_sub_f32_e32 v9, v13, v9
	v_dual_sub_f32 v56, v17, v21 :: v_dual_add_f32 v135, v6, v26
	v_add_f32_e32 v57, v4, v24
	v_dual_add_f32 v58, v28, v32 :: v_dual_sub_f32 v139, v26, v30
	v_add_f32_e32 v63, v24, v37
	v_dual_add_f32 v66, v5, v25 :: v_dual_add_f32 v145, v31, v35
	v_add_f32_e32 v67, v29, v33
	v_add_f32_e32 v72, v25, v38
	;; [unrolled: 1-line block ×3, first 2 shown]
	v_fma_f32 v41, -0.5, v42, v0
	v_fma_f32 v0, -0.5, v47, v0
	v_dual_sub_f32 v8, v8, v20 :: v_dual_sub_f32 v91, v23, v19
	v_sub_f32_e32 v54, v21, v17
	v_sub_f32_e32 v59, v25, v38
	v_dual_sub_f32 v60, v29, v33 :: v_dual_sub_f32 v137, v27, v40
	v_sub_f32_e32 v61, v24, v28
	v_dual_sub_f32 v62, v37, v32 :: v_dual_add_f32 v141, v26, v39
	v_dual_sub_f32 v64, v28, v24 :: v_dual_sub_f32 v143, v34, v39
	v_sub_f32_e32 v65, v32, v37
	v_dual_sub_f32 v24, v24, v37 :: v_dual_sub_f32 v147, v27, v31
	v_dual_sub_f32 v69, v28, v32 :: v_dual_sub_f32 v70, v25, v29
	v_add_f32_e32 v149, v27, v40
	v_sub_f32_e32 v71, v38, v33
	v_dual_sub_f32 v25, v29, v25 :: v_dual_add_f32 v74, v2, v10
	v_dual_sub_f32 v76, v11, v23 :: v_dual_add_f32 v13, v50, v13
	;; [unrolled: 1-line block ×3, first 2 shown]
	v_sub_f32_e32 v82, v18, v22
	v_sub_f32_e32 v90, v11, v15
	v_dual_sub_f32 v134, v19, v23 :: v_dual_add_f32 v29, v66, v29
	v_add_f32_e32 v144, v7, v27
	v_sub_f32_e32 v27, v31, v27
	v_sub_f32_e32 v150, v35, v40
	v_dual_add_f32 v42, v45, v46 :: v_dual_add_f32 v45, v48, v49
	v_fma_f32 v46, -0.5, v51, v1
	v_fma_f32 v1, -0.5, v55, v1
	;; [unrolled: 1-line block ×3, first 2 shown]
	v_add_f32_e32 v28, v57, v28
	v_fma_f32 v4, -0.5, v63, v4
	v_fma_f32 v51, -0.5, v67, v5
	;; [unrolled: 1-line block ×3, first 2 shown]
	v_dual_fmamk_f32 v67, v44, 0xbf737871, v0 :: v_dual_add_f32 v136, v30, v34
	v_sub_f32_e32 v73, v33, v38
	v_add_f32_e32 v75, v14, v18
	v_sub_f32_e32 v11, v15, v11
	v_dual_add_f32 v88, v15, v19 :: v_dual_add_f32 v47, v53, v54
	v_sub_f32_e32 v138, v31, v35
	v_dual_sub_f32 v140, v39, v34 :: v_dual_add_f32 v53, v70, v71
	v_sub_f32_e32 v146, v30, v34
	v_dual_add_f32 v49, v61, v62 :: v_dual_add_f32 v50, v64, v65
	v_dual_add_f32 v14, v74, v14 :: v_dual_add_f32 v13, v13, v17
	v_add_f32_e32 v55, v78, v79
	v_dual_sub_f32 v148, v40, v35 :: v_dual_add_f32 v27, v27, v150
	v_dual_sub_f32 v142, v30, v26 :: v_dual_add_f32 v15, v83, v15
	v_add_f32_e32 v56, v81, v82
	v_dual_add_f32 v58, v90, v91 :: v_dual_add_f32 v29, v29, v33
	v_dual_add_f32 v30, v135, v30 :: v_dual_fmamk_f32 v33, v69, 0x3f737871, v5
	v_add_f32_e32 v31, v144, v31
	v_fma_f32 v61, -0.5, v136, v6
	v_fma_f32 v64, -0.5, v145, v7
	v_fmac_f32_e32 v7, -0.5, v149
	v_dual_fmamk_f32 v66, v43, 0x3f737871, v41 :: v_dual_add_f32 v13, v13, v21
	v_fmac_f32_e32 v41, 0xbf737871, v43
	v_fmamk_f32 v71, v52, 0x3f737871, v1
	v_dual_add_f32 v12, v12, v16 :: v_dual_add_f32 v15, v15, v19
	v_dual_fmamk_f32 v17, v59, 0x3f737871, v48 :: v_dual_add_f32 v16, v28, v32
	v_dual_fmamk_f32 v28, v60, 0xbf737871, v4 :: v_dual_add_f32 v19, v31, v35
	v_dual_fmac_f32 v4, 0x3f737871, v60 :: v_dual_fmamk_f32 v35, v146, 0x3f737871, v7
	v_dual_fmac_f32 v5, 0xbf737871, v69 :: v_dual_add_f32 v80, v10, v22
	v_dual_add_f32 v25, v25, v73 :: v_dual_sub_f32 v26, v26, v39
	v_add_f32_e32 v11, v11, v134
	v_fmac_f32_e32 v1, 0xbf737871, v52
	v_fmamk_f32 v32, v24, 0xbf737871, v51
	v_fmac_f32_e32 v51, 0x3f737871, v24
	v_dual_fmamk_f32 v31, v26, 0xbf737871, v64 :: v_dual_add_f32 v12, v12, v20
	v_dual_fmac_f32 v4, 0xbf167918, v59 :: v_dual_fmac_f32 v33, 0xbf167918, v24
	v_dual_add_f32 v20, v29, v38 :: v_dual_fmac_f32 v5, 0x3f167918, v24
	v_sub_f32_e32 v10, v10, v22
	v_fma_f32 v54, -0.5, v75, v2
	v_fma_f32 v2, -0.5, v80, v2
	;; [unrolled: 1-line block ×3, first 2 shown]
	v_fmac_f32_e32 v3, -0.5, v133
	v_fma_f32 v63, -0.5, v141, v6
	v_fmac_f32_e32 v0, 0x3f737871, v44
	v_fmamk_f32 v70, v8, 0xbf737871, v46
	v_fmac_f32_e32 v46, 0x3f737871, v8
	v_dual_fmac_f32 v48, 0xbf737871, v59 :: v_dual_fmac_f32 v7, 0xbf737871, v146
	v_dual_add_f32 v14, v14, v18 :: v_dual_fmac_f32 v41, 0xbf167918, v44
	v_dual_add_f32 v18, v30, v34 :: v_dual_fmac_f32 v67, 0x3f167918, v43
	v_fmac_f32_e32 v51, 0x3f167918, v69
	v_dual_fmac_f32 v4, 0x3e9e377a, v50 :: v_dual_fmac_f32 v33, 0x3e9e377a, v25
	v_fmamk_f32 v34, v137, 0x3f737871, v61
	v_fmac_f32_e32 v61, 0xbf737871, v137
	v_dual_fmac_f32 v1, 0x3f167918, v8 :: v_dual_add_f32 v16, v16, v37
	v_dual_fmac_f32 v5, 0x3e9e377a, v25 :: v_dual_add_f32 v62, v139, v140
	v_fmamk_f32 v73, v77, 0xbf737871, v2
	v_dual_fmamk_f32 v72, v76, 0x3f737871, v54 :: v_dual_add_f32 v37, v14, v22
	v_dual_fmac_f32 v54, 0xbf737871, v76 :: v_dual_add_f32 v39, v18, v39
	v_dual_fmac_f32 v2, 0x3f737871, v77 :: v_dual_fmamk_f32 v75, v89, 0x3f737871, v3
	v_fmac_f32_e32 v3, 0xbf737871, v89
	v_fmamk_f32 v78, v138, 0xbf737871, v63
	v_fmac_f32_e32 v63, 0x3f737871, v138
	v_dual_fmac_f32 v0, 0xbf167918, v43 :: v_dual_fmac_f32 v71, 0xbf167918, v8
	s_delay_alu instid0(VALU_DEP_4)
	v_dual_fmac_f32 v46, 0x3f167918, v52 :: v_dual_fmac_f32 v3, 0x3f167918, v10
	v_dual_fmac_f32 v48, 0xbf167918, v60 :: v_dual_fmac_f32 v61, 0xbf167918, v138
	v_dual_add_f32 v38, v15, v23 :: v_dual_fmac_f32 v7, 0x3f167918, v26
	v_add_f32_e32 v43, v19, v40
	v_dual_fmac_f32 v51, 0x3e9e377a, v53 :: v_dual_sub_f32 v14, v12, v16
	v_dual_mul_f32 v23, 0xbe9e377a, v4 :: v_dual_mul_f32 v30, 0xbe9e377a, v5
	v_dual_add_f32 v65, v147, v148 :: v_dual_add_f32 v6, v142, v143
	v_fmamk_f32 v74, v10, 0xbf737871, v57
	v_fmac_f32_e32 v57, 0x3f737871, v10
	s_delay_alu instid0(VALU_DEP_4) | instskip(SKIP_4) | instid1(VALU_DEP_3)
	v_dual_fmac_f32 v64, 0x3f737871, v26 :: v_dual_fmac_f32 v23, 0x3f737871, v5
	v_dual_fmac_f32 v17, 0x3f167918, v60 :: v_dual_fmac_f32 v28, 0x3f167918, v59
	;; [unrolled: 1-line block ×6, first 2 shown]
	v_sub_f32_e32 v15, v13, v20
	v_dual_fmac_f32 v30, 0xbf737871, v4 :: v_dual_add_f32 v5, v38, v43
	v_fmac_f32_e32 v78, 0x3f167918, v137
	v_dual_fmac_f32 v66, 0x3f167918, v44 :: v_dual_fmac_f32 v57, 0x3f167918, v89
	v_dual_fmac_f32 v70, 0xbf167918, v52 :: v_dual_fmac_f32 v75, 0xbf167918, v10
	v_dual_fmac_f32 v32, 0xbf167918, v69 :: v_dual_fmac_f32 v31, 0xbf167918, v146
	v_dual_fmac_f32 v2, 0xbf167918, v76 :: v_dual_fmac_f32 v63, 0xbf167918, v137
	v_dual_fmac_f32 v17, 0x3e9e377a, v49 :: v_dual_fmac_f32 v28, 0x3e9e377a, v50
	v_fmac_f32_e32 v35, 0x3e9e377a, v27
	v_dual_mul_f32 v25, 0xbf4f1bbd, v48 :: v_dual_mul_f32 v40, 0xbf4f1bbd, v51
	v_add_f32_e32 v19, v1, v30
	v_fmac_f32_e32 v78, 0x3e9e377a, v6
	v_dual_fmac_f32 v70, 0x3e9e377a, v47 :: v_dual_fmac_f32 v71, 0x3e9e377a, v9
	v_dual_fmac_f32 v32, 0x3e9e377a, v53 :: v_dual_fmac_f32 v57, 0x3e9e377a, v58
	;; [unrolled: 1-line block ×3, first 2 shown]
	v_mul_f32_e32 v44, 0x3f737871, v35
	v_fmac_f32_e32 v7, 0x3e9e377a, v27
	v_dual_mul_f32 v27, 0xbf167918, v17 :: v_dual_fmac_f32 v40, 0xbf167918, v48
	v_mul_f32_e32 v6, 0x3f4f1bbd, v17
	v_dual_fmac_f32 v66, 0x3e9e377a, v42 :: v_dual_fmac_f32 v67, 0x3e9e377a, v45
	v_dual_add_f32 v8, v12, v16 :: v_dual_mul_f32 v21, 0x3f737871, v33
	v_dual_fmac_f32 v34, 0x3f167918, v138 :: v_dual_fmac_f32 v25, 0x3f167918, v51
	v_fmac_f32_e32 v27, 0x3f4f1bbd, v32
	v_fmac_f32_e32 v6, 0x3f167918, v32
	v_mul_f32_e32 v29, 0xbf737871, v28
	v_dual_add_f32 v9, v13, v20 :: v_dual_fmac_f32 v74, 0xbf167918, v89
	v_dual_fmac_f32 v3, 0x3e9e377a, v11 :: v_dual_fmac_f32 v34, 0x3e9e377a, v62
	s_delay_alu instid0(VALU_DEP_3)
	v_dual_add_f32 v10, v66, v6 :: v_dual_fmac_f32 v29, 0x3e9e377a, v33
	v_fmac_f32_e32 v64, 0x3f167918, v146
	v_dual_fmac_f32 v41, 0x3e9e377a, v42 :: v_dual_fmac_f32 v0, 0x3e9e377a, v45
	v_dual_fmac_f32 v72, 0x3e9e377a, v55 :: v_dual_fmac_f32 v61, 0x3e9e377a, v62
	;; [unrolled: 1-line block ×3, first 2 shown]
	v_fmac_f32_e32 v31, 0x3e9e377a, v65
	v_dual_mul_f32 v42, 0x3f4f1bbd, v34 :: v_dual_add_f32 v13, v46, v40
	v_fmac_f32_e32 v21, 0x3e9e377a, v28
	v_mul_f32_e32 v45, 0xbe9e377a, v63
	v_dual_add_f32 v11, v70, v27 :: v_dual_fmac_f32 v74, 0x3e9e377a, v58
	v_add_f32_e32 v17, v71, v29
	v_fmac_f32_e32 v64, 0x3e9e377a, v65
	v_dual_mul_f32 v47, 0xbf4f1bbd, v61 :: v_dual_add_f32 v18, v0, v23
	v_fmac_f32_e32 v42, 0x3f167918, v31
	v_add_f32_e32 v16, v67, v21
	v_add_f32_e32 v12, v41, v25
	v_sub_f32_e32 v22, v67, v21
	v_dual_sub_f32 v24, v0, v23 :: v_dual_fmac_f32 v47, 0x3f167918, v64
	v_dual_sub_f32 v26, v41, v25 :: v_dual_sub_f32 v21, v70, v27
	v_dual_sub_f32 v20, v66, v6 :: v_dual_sub_f32 v23, v71, v29
	v_fmac_f32_e32 v44, 0x3e9e377a, v78
	v_fmac_f32_e32 v45, 0x3f737871, v7
	v_sub_f32_e32 v25, v1, v30
	v_mul_f32_e32 v1, 0xbf167918, v34
	v_dual_sub_f32 v27, v46, v40 :: v_dual_add_f32 v4, v37, v39
	v_dual_mul_f32 v49, 0xbf4f1bbd, v64 :: v_dual_add_f32 v6, v72, v42
	s_delay_alu instid0(VALU_DEP_3) | instskip(SKIP_1) | instid1(VALU_DEP_3)
	v_fmac_f32_e32 v1, 0x3f4f1bbd, v31
	v_mul_f32_e32 v46, 0xbf737871, v78
	v_dual_add_f32 v28, v73, v44 :: v_dual_fmac_f32 v49, 0xbf167918, v61
	s_delay_alu instid0(VALU_DEP_3) | instskip(NEXT) | instid1(VALU_DEP_3)
	v_dual_mul_f32 v48, 0xbe9e377a, v7 :: v_dual_add_f32 v7, v74, v1
	v_dual_fmac_f32 v46, 0x3e9e377a, v35 :: v_dual_sub_f32 v41, v74, v1
	v_dual_sub_f32 v40, v72, v42 :: v_dual_sub_f32 v35, v38, v43
	v_mul_lo_u16 v38, v68, 10
	v_dual_sub_f32 v34, v37, v39 :: v_dual_and_b32 v37, 0xff, v68
	v_mul_u32_u24_e32 v39, 10, v36
	s_delay_alu instid0(VALU_DEP_3) | instskip(SKIP_1) | instid1(VALU_DEP_4)
	v_dual_add_f32 v33, v57, v49 :: v_dual_and_b32 v38, 0xffff, v38
	v_dual_fmac_f32 v48, 0xbf737871, v63 :: v_dual_sub_f32 v43, v75, v46
	v_mul_lo_u16 v37, 0xcd, v37
	s_delay_alu instid0(VALU_DEP_4) | instskip(NEXT) | instid1(VALU_DEP_4)
	v_dual_sub_f32 v42, v73, v44 :: v_dual_lshlrev_b32 v163, 3, v39
	v_lshlrev_b32_e32 v162, 3, v38
	v_and_b32_e32 v38, 0xffff, v36
	s_delay_alu instid0(VALU_DEP_4)
	v_lshrrev_b16 v37, 11, v37
	ds_store_b128 v162, v[8:11]
	ds_store_b128 v162, v[16:19] offset:16
	v_mul_u32_u24_e32 v8, 0xcccd, v38
	v_mul_lo_u16 v44, v37, 10
	v_dual_add_f32 v30, v2, v45 :: v_dual_add_f32 v29, v75, v46
	v_dual_add_f32 v32, v54, v47 :: v_dual_add_f32 v31, v3, v48
	s_delay_alu instid0(VALU_DEP_4) | instskip(NEXT) | instid1(VALU_DEP_4)
	v_lshrrev_b32_e32 v39, 19, v8
	v_sub_nc_u16 v9, v68, v44
	ds_store_b128 v162, v[12:15] offset:32
	ds_store_b128 v162, v[20:23] offset:48
	;; [unrolled: 1-line block ×3, first 2 shown]
	ds_store_b128 v163, v[4:7]
	ds_store_b128 v163, v[28:31] offset:16
	v_mul_lo_u16 v6, v39, 10
	v_dual_sub_f32 v0, v2, v45 :: v_dual_sub_f32 v1, v3, v48
	v_dual_sub_f32 v2, v54, v47 :: v_dual_sub_f32 v3, v57, v49
	v_and_b32_e32 v38, 0xff, v9
	ds_store_b128 v163, v[32:35] offset:32
	ds_store_b128 v163, v[40:43] offset:48
	;; [unrolled: 1-line block ×3, first 2 shown]
	v_sub_nc_u16 v40, v36, v6
	s_waitcnt lgkmcnt(0)
	v_mad_u64_u32 v[4:5], null, 0x48, v38, s[10:11]
	s_barrier
	s_delay_alu instid0(VALU_DEP_2)
	v_mul_lo_u16 v0, 0x48, v40
	buffer_gl0_inv
	v_and_b32_e32 v37, 0xffff, v37
	v_mad_u16 v39, 0x64, v39, v40
	s_clause 0x3
	global_load_b128 v[28:31], v[4:5], off
	global_load_b128 v[24:27], v[4:5], off offset:16
	global_load_b128 v[20:23], v[4:5], off offset:32
	;; [unrolled: 1-line block ×3, first 2 shown]
	v_and_b32_e32 v0, 0xffff, v0
	v_mul_u32_u24_e32 v37, 0x64, v37
	s_delay_alu instid0(VALU_DEP_2) | instskip(NEXT) | instid1(VALU_DEP_1)
	v_add_co_u32 v32, s2, s10, v0
	v_add_co_ci_u32_e64 v33, null, s11, 0, s2
	s_clause 0x5
	global_load_b64 v[135:136], v[4:5], off offset:64
	global_load_b128 v[12:15], v[32:33], off
	global_load_b128 v[8:11], v[32:33], off offset:16
	global_load_b128 v[4:7], v[32:33], off offset:32
	;; [unrolled: 1-line block ×3, first 2 shown]
	global_load_b64 v[133:134], v[32:33], off offset:64
	ds_load_2addr_b64 v[47:50], v161 offset0:16 offset1:216
	ds_load_2addr_b64 v[69:72], v157 offset0:32 offset1:232
	;; [unrolled: 1-line block ×3, first 2 shown]
	ds_load_2addr_b64 v[77:80], v156 offset1:200
	ds_load_2addr_b64 v[88:91], v159 offset0:16 offset1:216
	ds_load_2addr_b64 v[137:140], v154 offset0:32 offset1:232
	;; [unrolled: 1-line block ×3, first 2 shown]
	ds_load_2addr_b64 v[145:148], v153 offset1:200
	ds_load_2addr_b64 v[164:167], v155 offset0:16 offset1:216
	ds_load_2addr_b64 v[32:35], v152 offset1:200
	s_waitcnt vmcnt(0) lgkmcnt(0)
	s_barrier
	buffer_gl0_inv
	v_dual_mul_f32 v42, v48, v29 :: v_dual_mul_f32 v81, v138, v23
	v_mul_f32_e32 v59, v70, v31
	v_mul_f32_e32 v66, v69, v31
	v_dual_mul_f32 v60, v74, v25 :: v_dual_mul_f32 v55, v145, v19
	v_mul_f32_e32 v67, v73, v25
	v_mul_f32_e32 v61, v78, v27
	;; [unrolled: 1-line block ×4, first 2 shown]
	v_dual_mul_f32 v62, v88, v21 :: v_dual_mul_f32 v83, v146, v19
	v_mul_f32_e32 v58, v137, v23
	v_dual_mul_f32 v82, v142, v17 :: v_dual_mul_f32 v149, v165, v136
	v_dual_mul_f32 v56, v141, v17 :: v_dual_mul_f32 v169, v71, v15
	v_mul_f32_e32 v53, v164, v136
	v_mul_f32_e32 v51, v47, v29
	v_dual_mul_f32 v150, v50, v13 :: v_dual_mul_f32 v171, v80, v11
	v_dual_mul_f32 v41, v49, v13 :: v_dual_mul_f32 v168, v72, v15
	;; [unrolled: 1-line block ×5, first 2 shown]
	v_mul_f32_e32 v45, v90, v5
	v_dual_mul_f32 v57, v139, v7 :: v_dual_mul_f32 v174, v144, v1
	v_dual_mul_f32 v44, v143, v1 :: v_dual_fmac_f32 v51, v48, v28
	v_dual_mul_f32 v54, v147, v3 :: v_dual_fmac_f32 v67, v74, v24
	;; [unrolled: 1-line block ×3, first 2 shown]
	v_mul_f32_e32 v43, v166, v134
	v_fma_f32 v52, v47, v28, -v42
	v_fma_f32 v69, v69, v30, -v59
	v_dual_fmac_f32 v66, v70, v30 :: v_dual_fmac_f32 v45, v91, v4
	v_fma_f32 v70, v73, v24, -v60
	v_fma_f32 v73, v77, v26, -v61
	v_dual_fmac_f32 v64, v78, v26 :: v_dual_fmac_f32 v43, v167, v133
	v_fma_f32 v74, v88, v20, -v65
	v_dual_fmac_f32 v62, v89, v20 :: v_dual_fmac_f32 v55, v146, v18
	v_fma_f32 v77, v137, v22, -v81
	v_dual_fmac_f32 v58, v138, v22 :: v_dual_sub_f32 v81, v69, v73
	v_fma_f32 v65, v141, v16, -v82
	v_dual_fmac_f32 v56, v142, v16 :: v_dual_fmac_f32 v169, v72, v14
	v_fma_f32 v61, v145, v18, -v83
	v_fma_f32 v59, v164, v135, -v149
	;; [unrolled: 1-line block ×3, first 2 shown]
	v_dual_fmac_f32 v41, v50, v12 :: v_dual_fmac_f32 v54, v148, v2
	v_fma_f32 v71, v71, v14, -v168
	v_fma_f32 v47, v75, v8, -v170
	v_fmac_f32_e32 v46, v76, v8
	v_fma_f32 v72, v79, v10, -v171
	v_sub_f32_e32 v79, v66, v55
	v_dual_fmac_f32 v63, v80, v10 :: v_dual_add_f32 v78, v73, v77
	v_fma_f32 v48, v90, v4, -v172
	v_fma_f32 v75, v139, v6, -v173
	v_dual_fmac_f32 v57, v140, v6 :: v_dual_sub_f32 v82, v61, v77
	v_fma_f32 v49, v143, v0, -v174
	v_dual_fmac_f32 v44, v144, v0 :: v_dual_add_f32 v83, v69, v61
	v_fma_f32 v60, v147, v2, -v175
	v_fma_f32 v50, v166, v133, -v176
	v_dual_add_f32 v76, v32, v69 :: v_dual_sub_f32 v139, v55, v58
	v_dual_sub_f32 v80, v64, v58 :: v_dual_sub_f32 v89, v77, v61
	v_dual_sub_f32 v88, v73, v69 :: v_dual_add_f32 v91, v64, v58
	v_dual_add_f32 v90, v33, v66 :: v_dual_sub_f32 v141, v58, v55
	v_dual_sub_f32 v69, v69, v61 :: v_dual_sub_f32 v138, v66, v64
	v_dual_sub_f32 v137, v73, v77 :: v_dual_add_f32 v140, v66, v55
	v_dual_sub_f32 v66, v64, v66 :: v_dual_add_f32 v143, v74, v65
	v_dual_add_f32 v142, v52, v70 :: v_dual_sub_f32 v145, v62, v56
	v_dual_add_f32 v148, v70, v59 :: v_dual_sub_f32 v167, v67, v62
	v_dual_sub_f32 v150, v65, v59 :: v_dual_add_f32 v165, v62, v56
	v_dual_add_f32 v170, v67, v53 :: v_dual_sub_f32 v177, v60, v75
	v_dual_sub_f32 v144, v67, v53 :: v_dual_sub_f32 v149, v74, v70
	v_dual_sub_f32 v146, v70, v74 :: v_dual_sub_f32 v147, v59, v65
	v_dual_add_f32 v164, v51, v67 :: v_dual_sub_f32 v171, v56, v53
	v_dual_sub_f32 v166, v74, v65 :: v_dual_add_f32 v173, v72, v75
	v_dual_sub_f32 v168, v53, v56 :: v_dual_sub_f32 v67, v62, v67
	v_dual_add_f32 v172, v34, v71 :: v_dual_add_f32 v181, v35, v169
	v_dual_sub_f32 v176, v71, v72 :: v_dual_sub_f32 v183, v72, v75
	v_dual_add_f32 v178, v71, v60 :: v_dual_sub_f32 v185, v54, v57
	v_add_f32_e32 v182, v63, v57
	v_add_f32_e32 v186, v169, v54
	v_dual_add_f32 v190, v47, v50 :: v_dual_add_f32 v73, v76, v73
	v_fma_f32 v76, -0.5, v78, v32
	v_add_f32_e32 v78, v81, v82
	v_fma_f32 v81, -0.5, v83, v32
	v_dual_add_f32 v32, v88, v89 :: v_dual_add_f32 v89, v146, v147
	v_add_f32_e32 v64, v90, v64
	v_fma_f32 v82, -0.5, v91, v33
	v_fma_f32 v88, -0.5, v140, v33
	v_add_f32_e32 v33, v66, v141
	v_dual_add_f32 v66, v142, v74 :: v_dual_add_f32 v67, v67, v171
	v_fma_f32 v74, -0.5, v143, v52
	v_fmac_f32_e32 v52, -0.5, v148
	v_fma_f32 v91, -0.5, v165, v51
	v_dual_fmac_f32 v51, -0.5, v170 :: v_dual_sub_f32 v70, v70, v59
	v_dual_sub_f32 v175, v63, v57 :: v_dual_sub_f32 v174, v169, v54
	v_dual_sub_f32 v179, v72, v71 :: v_dual_sub_f32 v180, v75, v60
	v_sub_f32_e32 v187, v57, v54
	v_dual_sub_f32 v71, v71, v60 :: v_dual_sub_f32 v184, v169, v63
	v_dual_sub_f32 v169, v63, v169 :: v_dual_add_f32 v188, v42, v47
	v_add_f32_e32 v189, v48, v49
	v_dual_add_f32 v83, v138, v139 :: v_dual_add_f32 v90, v149, v150
	v_dual_add_f32 v141, v179, v180 :: v_dual_add_f32 v62, v164, v62
	;; [unrolled: 1-line block ×3, first 2 shown]
	v_fma_f32 v139, -0.5, v173, v34
	v_dual_add_f32 v140, v176, v177 :: v_dual_fmamk_f32 v77, v79, 0x3f737871, v76
	v_fma_f32 v34, -0.5, v178, v34
	v_add_f32_e32 v63, v181, v63
	v_fma_f32 v142, -0.5, v182, v35
	v_dual_fmac_f32 v35, -0.5, v186 :: v_dual_fmac_f32 v76, 0xbf737871, v79
	v_fmamk_f32 v149, v80, 0xbf737871, v81
	v_dual_fmac_f32 v81, 0x3f737871, v80 :: v_dual_add_f32 v58, v64, v58
	v_dual_fmamk_f32 v64, v69, 0xbf737871, v82 :: v_dual_add_f32 v65, v66, v65
	v_dual_fmamk_f32 v150, v137, 0x3f737871, v88 :: v_dual_fmamk_f32 v165, v166, 0x3f737871, v51
	v_dual_fmac_f32 v88, 0xbf737871, v137 :: v_dual_fmac_f32 v51, 0xbf737871, v166
	v_fmamk_f32 v66, v144, 0x3f737871, v74
	v_dual_fmamk_f32 v164, v145, 0xbf737871, v52 :: v_dual_add_f32 v57, v63, v57
	v_fmac_f32_e32 v52, 0x3f737871, v145
	v_dual_add_f32 v138, v167, v168 :: v_dual_add_f32 v143, v184, v185
	v_dual_add_f32 v146, v169, v187 :: v_dual_add_f32 v147, v188, v48
	v_fmac_f32_e32 v82, 0x3f737871, v69
	v_dual_add_f32 v56, v62, v56 :: v_dual_fmamk_f32 v167, v175, 0xbf737871, v34
	s_delay_alu instid0(VALU_DEP_3)
	v_dual_fmamk_f32 v62, v70, 0xbf737871, v91 :: v_dual_add_f32 v147, v147, v49
	v_dual_fmac_f32 v91, 0x3f737871, v70 :: v_dual_add_f32 v72, v72, v75
	v_add_f32_e32 v61, v73, v61
	v_fmamk_f32 v75, v174, 0x3f737871, v139
	v_fmamk_f32 v169, v183, 0x3f737871, v35
	v_dual_fmac_f32 v66, 0x3f167918, v145 :: v_dual_fmac_f32 v51, 0x3f167918, v70
	v_fmac_f32_e32 v52, 0xbf167918, v144
	v_dual_fmac_f32 v74, 0xbf737871, v144 :: v_dual_fmac_f32 v139, 0xbf737871, v174
	v_dual_fmac_f32 v77, 0x3f167918, v80 :: v_dual_fmac_f32 v82, 0x3f167918, v137
	;; [unrolled: 1-line block ×4, first 2 shown]
	v_dual_add_f32 v55, v58, v55 :: v_dual_fmac_f32 v64, 0xbf167918, v137
	v_dual_fmac_f32 v150, 0xbf167918, v69 :: v_dual_fmac_f32 v165, 0xbf167918, v70
	v_dual_add_f32 v58, v65, v59 :: v_dual_fmac_f32 v91, 0x3f167918, v166
	v_dual_add_f32 v56, v56, v53 :: v_dual_fmac_f32 v167, 0x3f167918, v174
	v_fmac_f32_e32 v169, 0xbf167918, v71
	v_dual_fmac_f32 v66, 0x3e9e377a, v89 :: v_dual_fmac_f32 v51, 0x3e9e377a, v67
	s_delay_alu instid0(VALU_DEP_3)
	v_dual_fmac_f32 v52, 0x3e9e377a, v90 :: v_dual_fmac_f32 v167, 0x3e9e377a, v141
	v_dual_fmac_f32 v74, 0xbf167918, v145 :: v_dual_fmac_f32 v139, 0xbf167918, v175
	;; [unrolled: 1-line block ×4, first 2 shown]
	v_fmac_f32_e32 v62, 0xbf167918, v166
	v_dual_fmac_f32 v76, 0x3e9e377a, v78 :: v_dual_fmac_f32 v149, 0x3e9e377a, v32
	v_dual_fmac_f32 v150, 0x3e9e377a, v33 :: v_dual_fmac_f32 v91, 0x3e9e377a, v138
	;; [unrolled: 1-line block ×3, first 2 shown]
	v_dual_mul_f32 v65, 0xbe9e377a, v52 :: v_dual_mul_f32 v78, 0xbe9e377a, v51
	v_dual_fmamk_f32 v168, v71, 0xbf737871, v142 :: v_dual_fmac_f32 v35, 0xbf737871, v183
	v_dual_fmac_f32 v142, 0x3f737871, v71 :: v_dual_add_f32 v33, v55, v56
	v_dual_fmac_f32 v81, 0x3e9e377a, v32 :: v_dual_fmac_f32 v82, 0x3e9e377a, v83
	v_dual_fmac_f32 v74, 0x3e9e377a, v89 :: v_dual_fmac_f32 v75, 0x3e9e377a, v140
	v_dual_fmac_f32 v164, 0x3e9e377a, v90 :: v_dual_fmac_f32 v139, 0x3e9e377a, v140
	v_dual_add_f32 v32, v61, v58 :: v_dual_mul_f32 v63, 0x3f737871, v165
	v_fmac_f32_e32 v62, 0x3e9e377a, v138
	v_fmac_f32_e32 v65, 0x3f737871, v51
	;; [unrolled: 1-line block ×3, first 2 shown]
	v_mul_f32_e32 v79, 0xbf4f1bbd, v91
	v_dual_fmac_f32 v168, 0xbf167918, v183 :: v_dual_sub_f32 v53, v61, v58
	v_fmac_f32_e32 v63, 0x3e9e377a, v164
	v_dual_fmac_f32 v142, 0x3f167918, v183 :: v_dual_mul_f32 v61, 0x3f167918, v62
	v_add_f32_e32 v58, v88, v78
	v_fmac_f32_e32 v79, 0xbf167918, v74
	v_dual_fmac_f32 v34, 0x3f737871, v175 :: v_dual_add_f32 v73, v57, v54
	v_dual_add_f32 v72, v72, v60 :: v_dual_fmac_f32 v35, 0x3f167918, v71
	s_delay_alu instid0(VALU_DEP_3) | instskip(SKIP_1) | instid1(VALU_DEP_4)
	v_dual_fmac_f32 v61, 0x3f4f1bbd, v66 :: v_dual_add_f32 v60, v82, v79
	v_mul_f32_e32 v70, 0xbf167918, v66
	v_fmac_f32_e32 v34, 0xbf167918, v174
	v_dual_sub_f32 v54, v55, v56 :: v_dual_fmac_f32 v169, 0x3e9e377a, v146
	s_delay_alu instid0(VALU_DEP_4)
	v_add_f32_e32 v51, v77, v61
	v_add_f32_e32 v55, v149, v63
	v_dual_sub_f32 v61, v77, v61 :: v_dual_fmac_f32 v70, 0x3f4f1bbd, v62
	v_sub_f32_e32 v63, v149, v63
	v_mul_f32_e32 v71, 0xbf737871, v164
	v_fma_f32 v148, -0.5, v189, v42
	v_fmac_f32_e32 v42, -0.5, v190
	v_add_f32_e32 v52, v64, v70
	s_delay_alu instid0(VALU_DEP_4) | instskip(SKIP_3) | instid1(VALU_DEP_4)
	v_dual_fmac_f32 v168, 0x3e9e377a, v143 :: v_dual_fmac_f32 v71, 0x3e9e377a, v165
	v_mul_f32_e32 v67, 0xbf4f1bbd, v74
	v_sub_f32_e32 v62, v64, v70
	v_dual_fmac_f32 v142, 0x3e9e377a, v143 :: v_dual_add_f32 v57, v81, v65
	v_dual_add_f32 v56, v150, v71 :: v_dual_sub_f32 v65, v81, v65
	s_delay_alu instid0(VALU_DEP_4) | instskip(SKIP_3) | instid1(VALU_DEP_4)
	v_dual_fmac_f32 v67, 0x3f167918, v91 :: v_dual_sub_f32 v66, v88, v78
	v_fmac_f32_e32 v34, 0x3e9e377a, v141
	v_sub_f32_e32 v74, v45, v44
	v_sub_f32_e32 v64, v150, v71
	v_add_f32_e32 v59, v76, v67
	v_sub_f32_e32 v69, v76, v67
	v_sub_f32_e32 v67, v46, v43
	v_dual_sub_f32 v70, v82, v79 :: v_dual_fmac_f32 v35, 0x3e9e377a, v146
	v_sub_f32_e32 v77, v47, v48
	v_dual_fmamk_f32 v79, v74, 0xbf737871, v42 :: v_dual_sub_f32 v80, v48, v47
	s_delay_alu instid0(VALU_DEP_4) | instskip(SKIP_3) | instid1(VALU_DEP_4)
	v_dual_fmamk_f32 v76, v67, 0x3f737871, v148 :: v_dual_sub_f32 v81, v49, v50
	v_fmac_f32_e32 v148, 0xbf737871, v67
	v_fmac_f32_e32 v42, 0x3f737871, v74
	v_dual_add_f32 v71, v147, v50 :: v_dual_sub_f32 v78, v50, v49
	v_dual_fmac_f32 v76, 0x3f167918, v74 :: v_dual_fmac_f32 v79, 0x3f167918, v67
	s_delay_alu instid0(VALU_DEP_4) | instskip(SKIP_4) | instid1(VALU_DEP_4)
	v_fmac_f32_e32 v148, 0xbf167918, v74
	v_dual_add_f32 v74, v45, v44 :: v_dual_sub_f32 v47, v47, v50
	v_fmac_f32_e32 v42, 0xbf167918, v67
	v_add_f32_e32 v67, v46, v43
	v_dual_add_f32 v77, v77, v78 :: v_dual_add_f32 v78, v80, v81
	v_fma_f32 v74, -0.5, v74, v41
	v_add_f32_e32 v50, v41, v46
	s_delay_alu instid0(VALU_DEP_4) | instskip(NEXT) | instid1(VALU_DEP_4)
	v_dual_sub_f32 v48, v48, v49 :: v_dual_fmac_f32 v41, -0.5, v67
	v_dual_fmac_f32 v76, 0x3e9e377a, v77 :: v_dual_fmac_f32 v79, 0x3e9e377a, v78
	v_dual_fmac_f32 v148, 0x3e9e377a, v77 :: v_dual_sub_f32 v77, v43, v44
	v_fmamk_f32 v67, v47, 0xbf737871, v74
	v_dual_sub_f32 v49, v46, v45 :: v_dual_fmac_f32 v42, 0x3e9e377a, v78
	v_fmamk_f32 v78, v48, 0x3f737871, v41
	v_dual_sub_f32 v80, v44, v43 :: v_dual_fmac_f32 v41, 0xbf737871, v48
	s_delay_alu instid0(VALU_DEP_3) | instskip(SKIP_2) | instid1(VALU_DEP_4)
	v_dual_add_f32 v49, v49, v77 :: v_dual_mul_f32 v88, 0xbf167918, v76
	v_add_lshl_u32 v164, v37, v38, 3
	v_lshrrev_b16 v37, 2, v36
	v_dual_fmac_f32 v41, 0x3f167918, v47 :: v_dual_sub_f32 v46, v45, v46
	v_fmac_f32_e32 v67, 0xbf167918, v48
	v_add_f32_e32 v45, v50, v45
	ds_store_2addr_b64 v164, v[32:33], v[51:52] offset1:10
	ds_store_2addr_b64 v164, v[55:56], v[57:58] offset0:20 offset1:30
	ds_store_2addr_b64 v164, v[59:60], v[53:54] offset0:40 offset1:50
	v_dual_add_f32 v46, v46, v80 :: v_dual_add_nc_u32 v33, 0xffffff9c, v151
	v_dual_fmac_f32 v67, 0x3e9e377a, v49 :: v_dual_add_f32 v44, v45, v44
	v_and_b32_e32 v32, 0xffff, v37
	v_and_b32_e32 v38, 0xffff, v39
	s_delay_alu instid0(VALU_DEP_4) | instskip(NEXT) | instid1(VALU_DEP_4)
	v_fmac_f32_e32 v41, 0x3e9e377a, v46
	v_dual_mul_f32 v81, 0xbe9e377a, v42 :: v_dual_add_f32 v82, v44, v43
	v_fmac_f32_e32 v74, 0x3f737871, v47
	v_mul_f32_e32 v77, 0x3f167918, v67
	v_fmac_f32_e32 v88, 0x3f4f1bbd, v67
	s_delay_alu instid0(VALU_DEP_4) | instskip(NEXT) | instid1(VALU_DEP_4)
	v_fmac_f32_e32 v81, 0x3f737871, v41
	v_dual_add_f32 v43, v72, v71 :: v_dual_fmac_f32 v74, 0x3f167918, v48
	s_delay_alu instid0(VALU_DEP_4) | instskip(SKIP_2) | instid1(VALU_DEP_4)
	v_fmac_f32_e32 v77, 0x3f4f1bbd, v76
	v_fmac_f32_e32 v78, 0xbf167918, v47
	v_add_f32_e32 v44, v73, v82
	v_dual_sub_f32 v73, v73, v82 :: v_dual_fmac_f32 v74, 0x3e9e377a, v49
	s_delay_alu instid0(VALU_DEP_3) | instskip(SKIP_3) | instid1(VALU_DEP_4)
	v_dual_add_f32 v45, v75, v77 :: v_dual_fmac_f32 v78, 0x3e9e377a, v46
	v_dual_add_f32 v49, v34, v81 :: v_dual_sub_f32 v72, v72, v71
	v_cndmask_b32_e32 v71, v33, v151, vcc_lo
	v_mul_u32_u24_e32 v32, 0x147b, v32
	v_mul_f32_e32 v80, 0x3f737871, v78
	v_add_f32_e32 v46, v168, v88
	v_dual_sub_f32 v34, v34, v81 :: v_dual_lshlrev_b32 v165, 3, v38
	ds_store_2addr_b64 v164, v[61:62], v[63:64] offset0:60 offset1:70
	ds_store_2addr_b64 v164, v[65:66], v[69:70] offset0:80 offset1:90
	v_fmac_f32_e32 v80, 0x3e9e377a, v79
	v_mul_f32_e32 v79, 0xbf737871, v79
	v_lshrrev_b32_e32 v69, 17, v32
	ds_store_2addr_b64 v165, v[43:44], v[45:46] offset1:10
	v_mul_i32_i24_e32 v32, 0x48, v71
	v_mul_hi_i32_i24_e32 v33, 0x48, v71
	v_fmac_f32_e32 v79, 0x3e9e377a, v78
	v_add_f32_e32 v47, v167, v80
	v_dual_mul_f32 v83, 0xbf4f1bbd, v148 :: v_dual_mul_f32 v90, 0xbf4f1bbd, v74
	s_delay_alu instid0(VALU_DEP_3) | instskip(SKIP_1) | instid1(VALU_DEP_3)
	v_dual_mul_f32 v89, 0xbe9e377a, v41 :: v_dual_add_f32 v48, v169, v79
	v_add_co_u32 v32, vcc_lo, s10, v32
	v_fmac_f32_e32 v90, 0xbf167918, v148
	s_delay_alu instid0(VALU_DEP_3) | instskip(SKIP_1) | instid1(VALU_DEP_3)
	v_fmac_f32_e32 v89, 0xbf737871, v42
	v_dual_fmac_f32 v83, 0x3f167918, v74 :: v_dual_sub_f32 v74, v75, v77
	v_dual_sub_f32 v77, v169, v79 :: v_dual_add_f32 v42, v142, v90
	s_delay_alu instid0(VALU_DEP_3)
	v_dual_add_f32 v50, v35, v89 :: v_dual_sub_f32 v75, v168, v88
	v_sub_f32_e32 v35, v35, v89
	v_dual_sub_f32 v76, v167, v80 :: v_dual_sub_f32 v79, v142, v90
	v_sub_f32_e32 v78, v139, v83
	v_add_f32_e32 v41, v139, v83
	ds_store_2addr_b64 v165, v[47:48], v[49:50] offset0:20 offset1:30
	ds_store_2addr_b64 v165, v[41:42], v[72:73] offset0:40 offset1:50
	;; [unrolled: 1-line block ×3, first 2 shown]
	v_mul_lo_u16 v34, 0x64, v69
	v_add_co_ci_u32_e32 v33, vcc_lo, s11, v33, vcc_lo
	ds_store_2addr_b64 v165, v[74:75], v[76:77] offset0:60 offset1:70
	s_waitcnt lgkmcnt(0)
	v_sub_nc_u16 v70, v36, v34
	s_barrier
	buffer_gl0_inv
	s_clause 0x1
	global_load_b128 v[60:63], v[32:33], off offset:720
	global_load_b128 v[56:59], v[32:33], off offset:736
	v_mul_lo_u16 v34, 0x48, v70
	s_clause 0x1
	global_load_b128 v[52:55], v[32:33], off offset:752
	global_load_b128 v[48:51], v[32:33], off offset:768
	v_cmp_lt_u16_e32 vcc_lo, 0x63, v68
	v_and_b32_e32 v34, 0xffff, v34
	v_cndmask_b32_e64 v68, 0, 0x3e8, vcc_lo
	s_delay_alu instid0(VALU_DEP_2) | instskip(NEXT) | instid1(VALU_DEP_1)
	v_add_co_u32 v64, s2, s10, v34
	v_add_co_ci_u32_e64 v65, null, s11, 0, s2
	s_clause 0x5
	global_load_b64 v[139:140], v[32:33], off offset:784
	global_load_b128 v[44:47], v[64:65], off offset:720
	global_load_b128 v[40:43], v[64:65], off offset:736
	;; [unrolled: 1-line block ×4, first 2 shown]
	global_load_b64 v[137:138], v[64:65], off offset:784
	ds_load_2addr_b64 v[78:81], v161 offset0:16 offset1:216
	ds_load_2addr_b64 v[141:144], v157 offset0:32 offset1:232
	ds_load_2addr_b64 v[145:148], v160 offset0:48 offset1:248
	ds_load_2addr_b64 v[166:169], v156 offset1:200
	ds_load_2addr_b64 v[170:173], v159 offset0:16 offset1:216
	ds_load_2addr_b64 v[174:177], v154 offset0:32 offset1:232
	;; [unrolled: 1-line block ×3, first 2 shown]
	ds_load_2addr_b64 v[182:185], v153 offset1:200
	ds_load_2addr_b64 v[186:189], v155 offset0:16 offset1:216
	ds_load_2addr_b64 v[64:67], v152 offset1:200
	s_waitcnt vmcnt(0) lgkmcnt(0)
	s_barrier
	buffer_gl0_inv
	s_mov_b32 s2, 0xd2f1a9fc
	s_mov_b32 s3, 0x3f30624d
	v_mul_f32_e32 v73, v79, v61
	v_mul_f32_e32 v149, v78, v61
	v_dual_mul_f32 v90, v142, v63 :: v_dual_mul_f32 v193, v171, v53
	v_dual_mul_f32 v91, v141, v63 :: v_dual_mul_f32 v194, v170, v53
	v_mul_f32_e32 v150, v146, v57
	v_dual_mul_f32 v190, v145, v57 :: v_dual_mul_f32 v191, v167, v59
	v_dual_mul_f32 v192, v166, v59 :: v_dual_mul_f32 v197, v179, v49
	;; [unrolled: 1-line block ×7, first 2 shown]
	v_mul_f32_e32 v203, v81, v45
	v_dual_mul_f32 v72, v80, v45 :: v_dual_mul_f32 v211, v189, v138
	v_mul_f32_e32 v204, v144, v47
	v_dual_mul_f32 v82, v143, v47 :: v_dual_mul_f32 v207, v173, v37
	s_delay_alu instid0(VALU_DEP_3)
	v_dual_mul_f32 v83, v168, v43 :: v_dual_fmac_f32 v72, v81, v44
	v_dual_mul_f32 v76, v172, v37 :: v_dual_fmac_f32 v149, v79, v60
	v_dual_mul_f32 v208, v177, v39 :: v_dual_mul_f32 v75, v180, v33
	v_dual_mul_f32 v88, v176, v39 :: v_dual_mul_f32 v209, v181, v33
	v_dual_mul_f32 v210, v185, v35 :: v_dual_fmac_f32 v91, v142, v62
	v_dual_mul_f32 v89, v184, v35 :: v_dual_fmac_f32 v190, v146, v56
	s_delay_alu instid0(VALU_DEP_4)
	v_dual_mul_f32 v74, v188, v138 :: v_dual_fmac_f32 v75, v181, v32
	v_fma_f32 v212, v78, v60, -v73
	v_fma_f32 v90, v141, v62, -v90
	;; [unrolled: 1-line block ×4, first 2 shown]
	v_dual_fmac_f32 v192, v167, v58 :: v_dual_fmac_f32 v77, v148, v40
	v_fma_f32 v146, v174, v54, -v195
	v_fmac_f32_e32 v196, v175, v54
	v_fma_f32 v166, v182, v50, -v199
	v_fmac_f32_e32 v200, v183, v50
	v_fma_f32 v73, v80, v44, -v203
	v_fma_f32 v145, v170, v52, -v193
	v_dual_fmac_f32 v194, v171, v52 :: v_dual_fmac_f32 v83, v169, v42
	v_fma_f32 v150, v178, v48, -v197
	v_dual_fmac_f32 v198, v179, v48 :: v_dual_fmac_f32 v89, v185, v34
	v_fma_f32 v167, v186, v139, -v201
	v_fmac_f32_e32 v202, v187, v139
	v_fma_f32 v174, v143, v46, -v204
	v_add_f32_e32 v143, v64, v90
	v_fmac_f32_e32 v82, v144, v46
	v_fma_f32 v78, v147, v40, -v205
	v_sub_f32_e32 v147, v91, v200
	v_fma_f32 v168, v168, v42, -v206
	v_fma_f32 v79, v172, v36, -v207
	v_dual_fmac_f32 v76, v173, v36 :: v_dual_sub_f32 v171, v166, v146
	v_fma_f32 v169, v176, v38, -v208
	v_fmac_f32_e32 v88, v177, v38
	v_fma_f32 v80, v180, v32, -v209
	v_fma_f32 v172, v184, v34, -v210
	v_dual_fmac_f32 v74, v189, v137 :: v_dual_add_f32 v173, v90, v166
	v_dual_sub_f32 v170, v90, v142 :: v_dual_add_f32 v191, v141, v167
	v_sub_f32_e32 v175, v142, v90
	v_dual_sub_f32 v176, v146, v166 :: v_dual_sub_f32 v193, v145, v141
	v_dual_add_f32 v177, v65, v91 :: v_dual_sub_f32 v148, v192, v196
	v_dual_add_f32 v178, v192, v196 :: v_dual_sub_f32 v179, v142, v146
	v_dual_sub_f32 v180, v91, v192 :: v_dual_add_f32 v185, v145, v150
	v_dual_add_f32 v182, v91, v200 :: v_dual_sub_f32 v187, v194, v198
	v_dual_sub_f32 v91, v192, v91 :: v_dual_add_f32 v144, v142, v146
	v_sub_f32_e32 v183, v196, v200
	v_dual_add_f32 v184, v212, v141 :: v_dual_sub_f32 v189, v167, v150
	v_dual_add_f32 v197, v149, v190 :: v_dual_add_f32 v208, v168, v169
	v_fma_f32 v81, v188, v137, -v211
	v_dual_sub_f32 v90, v90, v166 :: v_dual_sub_f32 v181, v200, v196
	v_sub_f32_e32 v186, v190, v202
	v_dual_sub_f32 v188, v141, v145 :: v_dual_sub_f32 v195, v150, v167
	v_add_f32_e32 v199, v194, v198
	v_sub_f32_e32 v203, v190, v194
	v_sub_f32_e32 v204, v202, v198
	v_add_f32_e32 v205, v190, v202
	v_sub_f32_e32 v190, v194, v190
	v_dual_sub_f32 v209, v82, v89 :: v_dual_add_f32 v142, v143, v142
	v_fma_f32 v210, -0.5, v144, v64
	v_add_f32_e32 v143, v170, v171
	v_fma_f32 v171, -0.5, v173, v64
	v_add_f32_e32 v64, v175, v176
	v_add_f32_e32 v144, v177, v192
	v_fma_f32 v173, -0.5, v178, v65
	v_add_f32_e32 v178, v197, v194
	v_fma_f32 v175, -0.5, v182, v65
	v_add_f32_e32 v65, v91, v183
	v_dual_add_f32 v91, v184, v145 :: v_dual_sub_f32 v206, v198, v202
	v_sub_f32_e32 v141, v141, v167
	v_dual_sub_f32 v201, v145, v150 :: v_dual_add_f32 v170, v180, v181
	v_add_f32_e32 v207, v66, v174
	v_fma_f32 v145, -0.5, v185, v212
	v_fmac_f32_e32 v212, -0.5, v191
	v_dual_add_f32 v176, v188, v189 :: v_dual_add_f32 v177, v193, v195
	v_fma_f32 v180, -0.5, v199, v149
	v_add_f32_e32 v181, v203, v204
	v_dual_fmac_f32 v149, -0.5, v205 :: v_dual_add_f32 v182, v190, v206
	v_fmamk_f32 v184, v147, 0x3f737871, v210
	v_dual_fmac_f32 v210, 0xbf737871, v147 :: v_dual_add_f32 v91, v91, v150
	v_add_f32_e32 v144, v144, v196
	v_fmamk_f32 v188, v90, 0xbf737871, v173
	v_fmac_f32_e32 v173, 0x3f737871, v90
	v_fmamk_f32 v189, v179, 0x3f737871, v175
	v_dual_fmac_f32 v175, 0xbf737871, v179 :: v_dual_fmamk_f32 v150, v187, 0xbf737871, v212
	v_dual_add_f32 v178, v178, v198 :: v_dual_fmamk_f32 v191, v201, 0x3f737871, v149
	v_dual_add_f32 v142, v142, v146 :: v_dual_fmamk_f32 v185, v148, 0xbf737871, v171
	v_fmac_f32_e32 v212, 0x3f737871, v187
	v_fmamk_f32 v190, v141, 0xbf737871, v180
	v_dual_add_f32 v144, v144, v200 :: v_dual_fmac_f32 v173, 0x3f167918, v179
	v_fmac_f32_e32 v189, 0xbf167918, v90
	v_dual_fmac_f32 v175, 0x3f167918, v90 :: v_dual_add_f32 v90, v91, v167
	s_delay_alu instid0(VALU_DEP_4)
	v_dual_add_f32 v91, v178, v202 :: v_dual_fmac_f32 v190, 0xbf167918, v201
	v_fmamk_f32 v146, v186, 0x3f737871, v145
	v_fmac_f32_e32 v145, 0xbf737871, v186
	v_dual_fmac_f32 v149, 0xbf737871, v201 :: v_dual_add_f32 v142, v142, v166
	v_fmac_f32_e32 v150, 0x3f167918, v186
	v_fmac_f32_e32 v191, 0xbf167918, v141
	;; [unrolled: 1-line block ×4, first 2 shown]
	v_add_f32_e32 v65, v144, v91
	v_fmac_f32_e32 v188, 0xbf167918, v179
	v_dual_fmac_f32 v145, 0xbf167918, v187 :: v_dual_fmac_f32 v212, 0xbf167918, v186
	v_fmac_f32_e32 v149, 0x3f167918, v141
	v_dual_fmac_f32 v150, 0x3e9e377a, v177 :: v_dual_fmac_f32 v191, 0x3e9e377a, v182
	v_dual_fmac_f32 v171, 0x3f737871, v148 :: v_dual_fmac_f32 v180, 0x3f737871, v141
	s_delay_alu instid0(VALU_DEP_4)
	v_dual_fmac_f32 v188, 0x3e9e377a, v170 :: v_dual_fmac_f32 v145, 0x3e9e377a, v176
	v_sub_f32_e32 v91, v144, v91
	v_fmac_f32_e32 v146, 0x3f167918, v187
	v_mul_f32_e32 v167, 0x3f737871, v191
	v_fmac_f32_e32 v190, 0x3e9e377a, v181
	v_dual_fmac_f32 v184, 0x3f167918, v148 :: v_dual_fmac_f32 v185, 0x3f167918, v147
	v_dual_fmac_f32 v210, 0xbf167918, v148 :: v_dual_fmac_f32 v171, 0xbf167918, v147
	;; [unrolled: 1-line block ×4, first 2 shown]
	v_mul_f32_e32 v177, 0xbf4f1bbd, v145
	v_fmac_f32_e32 v167, 0x3e9e377a, v150
	v_mul_f32_e32 v166, 0x3f167918, v190
	v_dual_fmac_f32 v184, 0x3e9e377a, v143 :: v_dual_fmac_f32 v185, 0x3e9e377a, v64
	v_dual_fmac_f32 v210, 0x3e9e377a, v143 :: v_dual_fmac_f32 v171, 0x3e9e377a, v64
	v_mul_f32_e32 v176, 0xbe9e377a, v212
	s_delay_alu instid0(VALU_DEP_4) | instskip(NEXT) | instid1(VALU_DEP_4)
	v_fmac_f32_e32 v166, 0x3f4f1bbd, v146
	v_dual_fmac_f32 v180, 0x3f167918, v201 :: v_dual_add_f32 v143, v185, v167
	v_fma_f32 v183, -0.5, v208, v66
	s_delay_alu instid0(VALU_DEP_4) | instskip(NEXT) | instid1(VALU_DEP_4)
	v_fmac_f32_e32 v176, 0x3f737871, v149
	v_dual_mul_f32 v182, 0xbe9e377a, v149 :: v_dual_add_f32 v141, v184, v166
	s_delay_alu instid0(VALU_DEP_4) | instskip(SKIP_2) | instid1(VALU_DEP_4)
	v_fmac_f32_e32 v180, 0x3e9e377a, v181
	v_mul_f32_e32 v181, 0xbf737871, v150
	v_add_f32_e32 v64, v142, v90
	v_fmac_f32_e32 v182, 0xbf737871, v212
	v_sub_f32_e32 v90, v142, v90
	v_sub_f32_e32 v170, v185, v167
	v_fmac_f32_e32 v181, 0x3e9e377a, v191
	v_mul_f32_e32 v186, 0xbf4f1bbd, v180
	v_mul_f32_e32 v179, 0xbf167918, v146
	v_dual_fmac_f32 v177, 0x3f167918, v180 :: v_dual_add_f32 v146, v175, v182
	v_fmamk_f32 v167, v209, 0x3f737871, v183
	s_delay_alu instid0(VALU_DEP_4) | instskip(NEXT) | instid1(VALU_DEP_4)
	v_fmac_f32_e32 v186, 0xbf167918, v145
	v_dual_fmac_f32 v179, 0x3f4f1bbd, v190 :: v_dual_add_f32 v144, v189, v181
	s_delay_alu instid0(VALU_DEP_4) | instskip(SKIP_1) | instid1(VALU_DEP_3)
	v_add_f32_e32 v147, v210, v177
	v_sub_f32_e32 v149, v184, v166
	v_dual_add_f32 v145, v171, v176 :: v_dual_add_f32 v142, v188, v179
	v_add_f32_e32 v148, v173, v186
	v_dual_sub_f32 v176, v171, v176 :: v_dual_sub_f32 v171, v189, v181
	v_sub_f32_e32 v180, v83, v88
	v_dual_sub_f32 v150, v188, v179 :: v_dual_sub_f32 v179, v174, v168
	v_sub_f32_e32 v181, v172, v169
	v_dual_sub_f32 v178, v210, v177 :: v_dual_sub_f32 v177, v175, v182
	v_dual_add_f32 v166, v207, v168 :: v_dual_fmac_f32 v183, 0xbf737871, v209
	s_delay_alu instid0(VALU_DEP_3) | instskip(SKIP_3) | instid1(VALU_DEP_4)
	v_dual_add_f32 v184, v174, v172 :: v_dual_add_f32 v175, v179, v181
	v_fmac_f32_e32 v167, 0x3f167918, v180
	v_sub_f32_e32 v179, v173, v186
	v_sub_f32_e32 v181, v168, v174
	v_fma_f32 v66, -0.5, v184, v66
	s_delay_alu instid0(VALU_DEP_4) | instskip(SKIP_1) | instid1(VALU_DEP_3)
	v_dual_add_f32 v184, v67, v82 :: v_dual_fmac_f32 v167, 0x3e9e377a, v175
	v_dual_add_f32 v166, v166, v169 :: v_dual_fmac_f32 v183, 0xbf167918, v180
	v_dual_fmamk_f32 v173, v180, 0xbf737871, v66 :: v_dual_sub_f32 v182, v169, v172
	v_add_f32_e32 v185, v83, v88
	s_delay_alu instid0(VALU_DEP_3) | instskip(SKIP_1) | instid1(VALU_DEP_4)
	v_add_f32_e32 v166, v166, v172
	v_fmac_f32_e32 v66, 0x3f737871, v180
	v_fmac_f32_e32 v173, 0x3f167918, v209
	v_dual_add_f32 v181, v181, v182 :: v_dual_add_f32 v180, v184, v83
	v_fma_f32 v184, -0.5, v185, v67
	v_dual_sub_f32 v172, v174, v172 :: v_dual_fmac_f32 v183, 0x3e9e377a, v175
	s_delay_alu instid0(VALU_DEP_3) | instskip(NEXT) | instid1(VALU_DEP_2)
	v_dual_fmac_f32 v173, 0x3e9e377a, v181 :: v_dual_add_f32 v174, v180, v88
	v_dual_add_f32 v180, v82, v89 :: v_dual_fmamk_f32 v175, v172, 0xbf737871, v184
	v_fmac_f32_e32 v66, 0xbf167918, v209
	v_dual_sub_f32 v168, v168, v169 :: v_dual_sub_f32 v169, v82, v83
	s_delay_alu instid0(VALU_DEP_3) | instskip(SKIP_1) | instid1(VALU_DEP_4)
	v_fmac_f32_e32 v67, -0.5, v180
	v_sub_f32_e32 v182, v89, v88
	v_fmac_f32_e32 v66, 0x3e9e377a, v181
	s_delay_alu instid0(VALU_DEP_4) | instskip(NEXT) | instid1(VALU_DEP_4)
	v_dual_add_f32 v174, v174, v89 :: v_dual_fmac_f32 v175, 0xbf167918, v168
	v_dual_fmac_f32 v184, 0x3f737871, v172 :: v_dual_fmamk_f32 v181, v168, 0x3f737871, v67
	s_delay_alu instid0(VALU_DEP_4) | instskip(SKIP_1) | instid1(VALU_DEP_3)
	v_add_f32_e32 v169, v169, v182
	v_dual_sub_f32 v82, v83, v82 :: v_dual_sub_f32 v83, v88, v89
	v_dual_add_f32 v88, v73, v78 :: v_dual_fmac_f32 v181, 0xbf167918, v172
	s_delay_alu instid0(VALU_DEP_3) | instskip(SKIP_1) | instid1(VALU_DEP_4)
	v_fmac_f32_e32 v175, 0x3e9e377a, v169
	v_fmac_f32_e32 v184, 0x3f167918, v168
	v_dual_add_f32 v82, v82, v83 :: v_dual_fmac_f32 v67, 0xbf737871, v168
	s_delay_alu instid0(VALU_DEP_4) | instskip(NEXT) | instid1(VALU_DEP_3)
	v_dual_add_f32 v83, v88, v79 :: v_dual_add_f32 v88, v79, v80
	v_fmac_f32_e32 v184, 0x3e9e377a, v169
	v_add_f32_e32 v89, v78, v81
	s_delay_alu instid0(VALU_DEP_4) | instskip(NEXT) | instid1(VALU_DEP_4)
	v_dual_fmac_f32 v67, 0x3f167918, v172 :: v_dual_sub_f32 v168, v77, v74
	v_add_f32_e32 v83, v83, v80
	v_fmac_f32_e32 v181, 0x3e9e377a, v82
	v_fma_f32 v88, -0.5, v88, v73
	s_delay_alu instid0(VALU_DEP_4) | instskip(NEXT) | instid1(VALU_DEP_4)
	v_dual_fmac_f32 v67, 0x3e9e377a, v82 :: v_dual_sub_f32 v172, v81, v80
	v_dual_add_f32 v82, v83, v81 :: v_dual_sub_f32 v83, v76, v75
	v_dual_fmac_f32 v73, -0.5, v89 :: v_dual_sub_f32 v182, v79, v78
	v_sub_f32_e32 v185, v80, v81
	v_fmamk_f32 v89, v168, 0x3f737871, v88
	v_dual_fmac_f32 v88, 0xbf737871, v168 :: v_dual_sub_f32 v169, v78, v79
	s_delay_alu instid0(VALU_DEP_4) | instskip(SKIP_1) | instid1(VALU_DEP_3)
	v_fmamk_f32 v180, v83, 0xbf737871, v73
	v_dual_fmac_f32 v73, 0x3f737871, v83 :: v_dual_sub_f32 v78, v78, v81
	v_dual_fmac_f32 v88, 0xbf167918, v83 :: v_dual_add_f32 v169, v169, v172
	s_delay_alu instid0(VALU_DEP_3) | instskip(SKIP_1) | instid1(VALU_DEP_3)
	v_fmac_f32_e32 v180, 0x3f167918, v168
	v_dual_add_f32 v172, v182, v185 :: v_dual_fmac_f32 v89, 0x3f167918, v83
	v_dual_add_f32 v83, v76, v75 :: v_dual_fmac_f32 v88, 0x3e9e377a, v169
	v_dual_fmac_f32 v73, 0xbf167918, v168 :: v_dual_sub_f32 v182, v75, v74
	s_delay_alu instid0(VALU_DEP_3) | instskip(NEXT) | instid1(VALU_DEP_4)
	v_dual_add_f32 v168, v77, v74 :: v_dual_fmac_f32 v89, 0x3e9e377a, v169
	v_fmac_f32_e32 v180, 0x3e9e377a, v172
	s_delay_alu instid0(VALU_DEP_4) | instskip(NEXT) | instid1(VALU_DEP_3)
	v_fma_f32 v83, -0.5, v83, v72
	v_dual_add_f32 v81, v72, v77 :: v_dual_fmac_f32 v72, -0.5, v168
	v_sub_f32_e32 v79, v79, v80
	v_dual_sub_f32 v80, v77, v76 :: v_dual_sub_f32 v169, v74, v75
	v_fmac_f32_e32 v73, 0x3e9e377a, v172
	v_fmamk_f32 v168, v78, 0xbf737871, v83
	s_delay_alu instid0(VALU_DEP_4) | instskip(NEXT) | instid1(VALU_DEP_4)
	v_dual_fmamk_f32 v172, v79, 0x3f737871, v72 :: v_dual_sub_f32 v77, v76, v77
	v_add_f32_e32 v80, v80, v169
	v_fmac_f32_e32 v72, 0xbf737871, v79
	v_dual_add_f32 v76, v81, v76 :: v_dual_fmac_f32 v83, 0x3f737871, v78
	s_delay_alu instid0(VALU_DEP_4) | instskip(NEXT) | instid1(VALU_DEP_2)
	v_dual_fmac_f32 v168, 0xbf167918, v79 :: v_dual_add_f32 v77, v77, v182
	v_dual_fmac_f32 v172, 0xbf167918, v78 :: v_dual_add_f32 v75, v76, v75
	s_delay_alu instid0(VALU_DEP_3) | instskip(SKIP_1) | instid1(VALU_DEP_3)
	v_dual_fmac_f32 v72, 0x3f167918, v78 :: v_dual_fmac_f32 v83, 0x3f167918, v79
	v_mul_f32_e32 v185, 0xbe9e377a, v73
	v_fmac_f32_e32 v172, 0x3e9e377a, v77
	s_delay_alu instid0(VALU_DEP_4) | instskip(SKIP_3) | instid1(VALU_DEP_4)
	v_add_f32_e32 v186, v75, v74
	v_fmac_f32_e32 v168, 0x3e9e377a, v80
	v_dual_fmac_f32 v83, 0x3e9e377a, v80 :: v_dual_add_f32 v74, v166, v82
	v_sub_f32_e32 v82, v166, v82
	v_add_f32_e32 v75, v174, v186
	s_delay_alu instid0(VALU_DEP_4) | instskip(NEXT) | instid1(VALU_DEP_4)
	v_mul_f32_e32 v169, 0x3f167918, v168
	v_mul_f32_e32 v190, 0xbf4f1bbd, v83
	v_add_lshl_u32 v166, v71, v68, 3
	v_mad_u16 v68, 0x3e8, v69, v70
	s_delay_alu instid0(VALU_DEP_4) | instskip(NEXT) | instid1(VALU_DEP_4)
	v_fmac_f32_e32 v169, 0x3f4f1bbd, v89
	v_dual_mul_f32 v89, 0xbf167918, v89 :: v_dual_fmac_f32 v190, 0xbf167918, v88
	v_mul_f32_e32 v188, 0xbf737871, v180
	ds_store_2addr_b64 v166, v[64:65], v[141:142] offset1:100
	v_and_b32_e32 v64, 0xffff, v68
	v_fmac_f32_e32 v89, 0x3f4f1bbd, v168
	v_mul_f32_e32 v182, 0x3f737871, v172
	v_fmac_f32_e32 v188, 0x3e9e377a, v172
	v_fmac_f32_e32 v72, 0x3e9e377a, v77
	s_delay_alu instid0(VALU_DEP_4) | instskip(NEXT) | instid1(VALU_DEP_3)
	v_dual_add_f32 v77, v175, v89 :: v_dual_add_nc_u32 v168, 0x1800, v166
	v_add_f32_e32 v79, v181, v188
	s_delay_alu instid0(VALU_DEP_3) | instskip(NEXT) | instid1(VALU_DEP_1)
	v_mul_f32_e32 v189, 0xbe9e377a, v72
	v_fmac_f32_e32 v189, 0xbf737871, v73
	s_delay_alu instid0(VALU_DEP_1) | instskip(NEXT) | instid1(VALU_DEP_1)
	v_dual_fmac_f32 v182, 0x3e9e377a, v180 :: v_dual_add_f32 v81, v67, v189
	v_dual_add_f32 v78, v173, v182 :: v_dual_fmac_f32 v185, 0x3f737871, v72
	v_dual_add_f32 v76, v167, v169 :: v_dual_mul_f32 v187, 0xbf4f1bbd, v88
	v_dual_sub_f32 v180, v173, v182 :: v_dual_sub_f32 v89, v175, v89
	s_delay_alu instid0(VALU_DEP_3) | instskip(NEXT) | instid1(VALU_DEP_3)
	v_dual_add_f32 v80, v66, v185 :: v_dual_add_nc_u32 v175, 0x400, v166
	v_fmac_f32_e32 v187, 0x3f167918, v83
	v_dual_sub_f32 v88, v167, v169 :: v_dual_add_nc_u32 v173, 0x800, v166
	v_add_nc_u32_e32 v169, 0x1000, v166
	v_lshlrev_b32_e32 v167, 3, v64
	ds_store_2addr_b64 v175, v[143:144], v[145:146] offset0:72 offset1:172
	ds_store_2addr_b64 v173, v[147:148], v[90:91] offset0:144 offset1:244
	;; [unrolled: 1-line block ×4, first 2 shown]
	ds_store_2addr_b64 v167, v[74:75], v[76:77] offset1:100
	v_mad_u64_u32 v[74:75], null, v151, 24, s[10:11]
	v_add_nc_u32_e32 v170, 0x400, v167
	v_dual_add_f32 v72, v183, v187 :: v_dual_sub_f32 v83, v174, v186
	v_sub_f32_e32 v67, v67, v189
	v_add_f32_e32 v73, v184, v190
	v_dual_sub_f32 v66, v66, v185 :: v_dual_add_nc_u32 v171, 0x800, v167
	v_dual_sub_f32 v181, v181, v188 :: v_dual_add_nc_u32 v172, 0x1000, v167
	v_add_co_u32 v64, vcc_lo, 0x1ef0, v74
	v_dual_sub_f32 v182, v183, v187 :: v_dual_sub_f32 v183, v184, v190
	v_add_nc_u32_e32 v174, 0x1800, v167
	v_add_co_ci_u32_e32 v65, vcc_lo, 0, v75, vcc_lo
	ds_store_2addr_b64 v170, v[78:79], v[80:81] offset0:72 offset1:172
	ds_store_2addr_b64 v171, v[72:73], v[82:83] offset0:144 offset1:244
	;; [unrolled: 1-line block ×4, first 2 shown]
	v_add_co_u32 v66, vcc_lo, 0x1000, v74
	v_add_co_ci_u32_e32 v67, vcc_lo, 0, v75, vcc_lo
	v_add_co_u32 v68, vcc_lo, 0x3000, v74
	v_add_co_ci_u32_e32 v69, vcc_lo, 0, v75, vcc_lo
	;; [unrolled: 2-line block ×5, first 2 shown]
	s_waitcnt lgkmcnt(0)
	s_barrier
	buffer_gl0_inv
	s_clause 0x5
	global_load_b128 v[76:79], v[66:67], off offset:3824
	global_load_b64 v[149:150], v[64:65], off offset:16
	global_load_b128 v[68:71], v[68:69], off offset:432
	global_load_b64 v[145:146], v[72:73], off offset:16
	global_load_b128 v[64:67], v[80:81], off offset:1136
	global_load_b64 v[141:142], v[82:83], off offset:16
	v_add_co_u32 v72, vcc_lo, 0x5000, v74
	v_add_co_ci_u32_e32 v73, vcc_lo, 0, v75, vcc_lo
	v_add_co_u32 v88, vcc_lo, 0x5730, v74
	v_add_co_ci_u32_e32 v89, vcc_lo, 0, v75, vcc_lo
	;; [unrolled: 2-line block ×3, first 2 shown]
	s_clause 0x1
	global_load_b128 v[80:83], v[72:73], off offset:1840
	global_load_b64 v[147:148], v[88:89], off offset:16
	v_add_co_u32 v88, vcc_lo, 0x69f0, v74
	v_add_co_ci_u32_e32 v89, vcc_lo, 0, v75, vcc_lo
	s_clause 0x1
	global_load_b128 v[72:75], v[90:91], off offset:2544
	global_load_b64 v[143:144], v[88:89], off offset:16
	ds_load_2addr_b64 v[88:91], v159 offset0:16 offset1:216
	ds_load_2addr_b64 v[176:179], v158 offset0:48 offset1:248
	;; [unrolled: 1-line block ×3, first 2 shown]
	ds_load_2addr_b64 v[184:187], v153 offset1:200
	ds_load_2addr_b64 v[188:191], v154 offset0:32 offset1:232
	ds_load_2addr_b64 v[192:195], v156 offset1:200
	ds_load_2addr_b64 v[196:199], v155 offset0:16 offset1:216
	;; [unrolled: 2-line block ×3, first 2 shown]
	ds_load_2addr_b64 v[208:211], v157 offset0:32 offset1:232
	s_waitcnt vmcnt(9) lgkmcnt(9)
	v_mul_f32_e32 v212, v89, v79
	v_mul_f32_e32 v213, v88, v79
	s_waitcnt vmcnt(7) lgkmcnt(7)
	v_dual_mul_f32 v215, v178, v150 :: v_dual_mul_f32 v216, v181, v69
	s_waitcnt vmcnt(5)
	v_dual_mul_f32 v223, v182, v65 :: v_dual_mul_f32 v218, v91, v71
	v_dual_mul_f32 v219, v90, v71 :: v_dual_mul_f32 v222, v183, v65
	s_waitcnt lgkmcnt(6)
	v_mul_f32_e32 v220, v185, v146
	v_fma_f32 v88, v88, v78, -v212
	s_waitcnt lgkmcnt(0)
	v_dual_mul_f32 v241, v210, v77 :: v_dual_mul_f32 v214, v179, v150
	v_mul_f32_e32 v217, v180, v69
	v_dual_mul_f32 v221, v184, v146 :: v_dual_mul_f32 v224, v189, v67
	s_waitcnt vmcnt(4)
	v_mul_f32_e32 v227, v186, v142
	v_dual_mul_f32 v225, v188, v67 :: v_dual_mul_f32 v226, v187, v142
	s_waitcnt vmcnt(3)
	v_dual_mul_f32 v229, v192, v81 :: v_dual_mul_f32 v230, v191, v83
	v_dual_mul_f32 v240, v211, v77 :: v_dual_fmac_f32 v213, v89, v78
	v_fma_f32 v89, v90, v70, -v218
	s_waitcnt vmcnt(1)
	v_dual_fmac_f32 v219, v91, v70 :: v_dual_mul_f32 v236, v177, v75
	s_waitcnt vmcnt(0)
	v_mul_f32_e32 v239, v198, v144
	v_dual_mul_f32 v237, v176, v75 :: v_dual_mul_f32 v238, v199, v144
	v_fma_f32 v90, v180, v68, -v216
	v_fma_f32 v91, v184, v145, -v220
	;; [unrolled: 1-line block ×3, first 2 shown]
	v_dual_sub_f32 v184, v200, v88 :: v_dual_fmac_f32 v215, v179, v149
	v_fmac_f32_e32 v241, v211, v76
	v_dual_mul_f32 v232, v197, v148 :: v_dual_mul_f32 v235, v194, v73
	v_dual_mul_f32 v233, v196, v148 :: v_dual_mul_f32 v234, v195, v73
	v_fma_f32 v180, v182, v64, -v222
	v_fmac_f32_e32 v227, v187, v141
	v_fma_f32 v182, v188, v66, -v224
	v_fma_f32 v178, v178, v149, -v214
	;; [unrolled: 1-line block ×3, first 2 shown]
	v_fmac_f32_e32 v221, v185, v145
	v_sub_f32_e32 v185, v201, v213
	v_dual_sub_f32 v188, v202, v89 :: v_dual_sub_f32 v213, v208, v176
	v_sub_f32_e32 v176, v241, v215
	v_fmac_f32_e32 v225, v189, v66
	v_fmac_f32_e32 v223, v183, v64
	v_fma_f32 v183, v190, v82, -v230
	v_fmac_f32_e32 v217, v181, v68
	v_fma_f32 v181, v186, v141, -v226
	v_dual_sub_f32 v91, v90, v91 :: v_dual_mul_f32 v228, v193, v81
	v_mul_f32_e32 v231, v190, v83
	v_dual_sub_f32 v210, v206, v183 :: v_dual_fmac_f32 v235, v195, v72
	v_sub_f32_e32 v88, v179, v178
	v_sub_f32_e32 v178, v217, v221
	v_fmac_f32_e32 v229, v193, v80
	v_sub_f32_e32 v193, v180, v181
	v_fma_f32 v190, v202, 2.0, -v188
	v_fmac_f32_e32 v233, v197, v147
	v_sub_f32_e32 v197, v204, v182
	v_fma_f32 v182, v90, 2.0, -v91
	v_fma_f32 v186, v200, 2.0, -v184
	v_fma_f32 v179, v179, 2.0, -v88
	v_sub_f32_e32 v90, v188, v178
	v_fma_f32 v195, v204, 2.0, -v197
	v_fma_f32 v202, v180, 2.0, -v193
	v_dual_sub_f32 v180, v190, v182 :: v_dual_fmac_f32 v239, v199, v143
	v_fma_f32 v212, v194, v72, -v234
	v_fmac_f32_e32 v237, v177, v74
	v_fma_f32 v177, v196, v147, -v232
	v_fma_f32 v196, v198, v143, -v238
	v_sub_f32_e32 v198, v205, v225
	v_fma_f32 v183, v217, 2.0, -v178
	v_dual_sub_f32 v178, v186, v179 :: v_dual_fmac_f32 v231, v191, v82
	v_sub_f32_e32 v214, v209, v237
	v_fma_f32 v191, v192, v80, -v228
	v_sub_f32_e32 v192, v223, v227
	v_sub_f32_e32 v182, v195, v202
	;; [unrolled: 1-line block ×5, first 2 shown]
	v_fma_f32 v187, v201, 2.0, -v185
	v_fma_f32 v199, v205, 2.0, -v198
	;; [unrolled: 1-line block ×3, first 2 shown]
	v_sub_f32_e32 v205, v212, v196
	v_fma_f32 v194, v203, 2.0, -v189
	v_fma_f32 v203, v223, 2.0, -v192
	;; [unrolled: 1-line block ×3, first 2 shown]
	v_add_f32_e32 v89, v185, v88
	v_dual_sub_f32 v88, v184, v176 :: v_dual_sub_f32 v179, v187, v181
	v_sub_f32_e32 v181, v194, v183
	v_sub_f32_e32 v183, v199, v203
	v_fma_f32 v203, v212, 2.0, -v205
	v_sub_f32_e32 v215, v191, v177
	v_fma_f32 v200, v206, 2.0, -v210
	v_fma_f32 v176, v184, 2.0, -v88
	;; [unrolled: 1-line block ×8, first 2 shown]
	v_dual_sub_f32 v211, v207, v231 :: v_dual_sub_f32 v192, v197, v192
	s_delay_alu instid0(VALU_DEP_4)
	v_sub_f32_e32 v194, v200, v194
	ds_store_b64 v152, v[176:177] offset:8000
	ds_store_b64 v152, v[178:179] offset:16000
	;; [unrolled: 1-line block ×3, first 2 shown]
	ds_store_2addr_b64 v152, v[184:185], v[186:187] offset1:200
	v_dual_add_f32 v193, v198, v193 :: v_dual_add_nc_u32 v176, 0x6a00, v152
	v_fma_f32 v190, v195, 2.0, -v182
	v_fma_f32 v195, v229, 2.0, -v202
	;; [unrolled: 1-line block ×6, first 2 shown]
	v_sub_f32_e32 v200, v210, v202
	v_fma_f32 v201, v207, 2.0, -v211
	v_fma_f32 v206, v235, 2.0, -v204
	v_sub_f32_e32 v204, v213, v204
	v_add_f32_e32 v91, v189, v91
	v_fma_f32 v191, v199, 2.0, -v183
	v_sub_f32_e32 v195, v201, v195
	v_dual_sub_f32 v202, v208, v203 :: v_dual_sub_f32 v203, v209, v206
	v_add_f32_e32 v205, v214, v205
	v_fma_f32 v188, v188, 2.0, -v90
	s_delay_alu instid0(VALU_DEP_4)
	v_fma_f32 v199, v201, 2.0, -v195
	v_add_f32_e32 v201, v211, v215
	v_fma_f32 v189, v189, 2.0, -v91
	v_fma_f32 v206, v210, 2.0, -v200
	;; [unrolled: 1-line block ×7, first 2 shown]
	ds_store_b64 v152, v[180:181] offset:17600
	ds_store_b64 v152, v[90:91] offset:25600
	ds_store_2addr_b64 v160, v[188:189], v[196:197] offset0:48 offset1:248
	ds_store_2addr_b64 v161, v[190:191], v[198:199] offset0:16 offset1:216
	;; [unrolled: 1-line block ×4, first 2 shown]
	ds_store_2addr_b64 v156, v[206:207], v[210:211] offset1:200
	ds_store_b64 v152, v[208:209] offset:6400
	ds_store_b64 v152, v[202:203] offset:22400
	;; [unrolled: 1-line block ×3, first 2 shown]
	s_waitcnt lgkmcnt(0)
	s_barrier
	buffer_gl0_inv
	global_load_b64 v[88:89], v[84:85], off offset:3328
	v_add_co_u32 v84, vcc_lo, 0x7d00, v86
	v_add_co_ci_u32_e32 v85, vcc_lo, 0, v87, vcc_lo
	v_add_co_u32 v90, vcc_lo, 0x8000, v86
	v_add_co_ci_u32_e32 v91, vcc_lo, 0, v87, vcc_lo
	global_load_b64 v[181:182], v[84:85], off offset:1600
	v_add_co_u32 v177, vcc_lo, 0x9000, v86
	v_add_co_ci_u32_e32 v178, vcc_lo, 0, v87, vcc_lo
	s_clause 0x2
	global_load_b64 v[197:198], v[84:85], off offset:3200
	global_load_b64 v[199:200], v[90:91], off offset:4032
	;; [unrolled: 1-line block ×3, first 2 shown]
	v_add_co_u32 v84, vcc_lo, 0xa000, v86
	v_add_co_ci_u32_e32 v85, vcc_lo, 0, v87, vcc_lo
	v_add_co_u32 v90, vcc_lo, 0xb000, v86
	s_clause 0x1
	global_load_b64 v[203:204], v[177:178], off offset:3136
	global_load_b64 v[205:206], v[84:85], off offset:640
	v_add_co_ci_u32_e32 v91, vcc_lo, 0, v87, vcc_lo
	s_clause 0x1
	global_load_b64 v[207:208], v[84:85], off offset:2240
	global_load_b64 v[209:210], v[84:85], off offset:3840
	v_add_co_u32 v84, vcc_lo, 0xc000, v86
	v_add_co_ci_u32_e32 v85, vcc_lo, 0, v87, vcc_lo
	s_clause 0x3
	global_load_b64 v[211:212], v[90:91], off offset:1344
	global_load_b64 v[213:214], v[90:91], off offset:2944
	;; [unrolled: 1-line block ×4, first 2 shown]
	v_add_co_u32 v90, vcc_lo, 0xd000, v86
	v_add_co_ci_u32_e32 v91, vcc_lo, 0, v87, vcc_lo
	v_add_co_u32 v177, vcc_lo, 0xe000, v86
	v_add_co_ci_u32_e32 v178, vcc_lo, 0, v87, vcc_lo
	s_clause 0x3
	global_load_b64 v[219:220], v[84:85], off offset:3648
	global_load_b64 v[221:222], v[90:91], off offset:1152
	;; [unrolled: 1-line block ×4, first 2 shown]
	v_add_co_u32 v84, vcc_lo, 0xf000, v86
	v_add_co_ci_u32_e32 v85, vcc_lo, 0, v87, vcc_lo
	s_clause 0x2
	global_load_b64 v[227:228], v[177:178], off offset:1856
	global_load_b64 v[229:230], v[84:85], off offset:960
	;; [unrolled: 1-line block ×3, first 2 shown]
	ds_load_2addr_b64 v[84:87], v152 offset1:200
	s_waitcnt vmcnt(19) lgkmcnt(0)
	v_mul_f32_e32 v91, v85, v89
	v_mul_f32_e32 v90, v84, v89
	s_delay_alu instid0(VALU_DEP_2) | instskip(NEXT) | instid1(VALU_DEP_2)
	v_fma_f32 v89, v84, v88, -v91
	v_fmac_f32_e32 v90, v85, v88
	s_waitcnt vmcnt(18)
	v_mul_f32_e32 v84, v87, v182
	v_mul_f32_e32 v234, v86, v182
	ds_store_b64 v152, v[89:90]
	ds_load_2addr_b64 v[88:91], v161 offset0:16 offset1:216
	ds_load_2addr_b64 v[177:180], v157 offset0:32 offset1:232
	v_fma_f32 v233, v86, v181, -v84
	v_fmac_f32_e32 v234, v87, v181
	ds_load_2addr_b64 v[84:87], v160 offset0:48 offset1:248
	ds_load_2addr_b64 v[181:184], v156 offset1:200
	ds_load_2addr_b64 v[185:188], v159 offset0:16 offset1:216
	ds_load_2addr_b64 v[189:192], v154 offset0:32 offset1:232
	;; [unrolled: 1-line block ×3, first 2 shown]
	v_add_nc_u32_e32 v241, 0x600, v152
	s_waitcnt vmcnt(17) lgkmcnt(6)
	v_mul_f32_e32 v235, v89, v198
	v_mul_f32_e32 v236, v88, v198
	s_waitcnt vmcnt(16)
	v_mul_f32_e32 v198, v91, v200
	v_mul_f32_e32 v238, v90, v200
	s_waitcnt vmcnt(15) lgkmcnt(5)
	v_dual_mul_f32 v200, v178, v202 :: v_dual_add_nc_u32 v243, 0x1e00, v152
	v_dual_fmac_f32 v236, v89, v197 :: v_dual_add_nc_u32 v245, 0x3800, v152
	s_delay_alu instid0(VALU_DEP_3)
	v_fmac_f32_e32 v238, v91, v199
	v_mul_f32_e32 v240, v177, v202
	v_fma_f32 v237, v90, v199, -v198
	s_waitcnt vmcnt(14)
	v_mul_f32_e32 v202, v179, v204
	v_fma_f32 v235, v88, v197, -v235
	ds_load_2addr_b64 v[88:91], v153 offset1:200
	v_fma_f32 v239, v177, v201, -v200
	ds_load_2addr_b64 v[197:200], v155 offset0:16 offset1:216
	s_waitcnt vmcnt(11) lgkmcnt(5)
	v_dual_mul_f32 v249, v180, v204 :: v_dual_mul_f32 v204, v181, v210
	v_dual_fmac_f32 v240, v178, v201 :: v_dual_add_nc_u32 v247, 0x5000, v152
	v_dual_mul_f32 v177, v85, v206 :: v_dual_fmac_f32 v202, v180, v203
	s_delay_alu instid0(VALU_DEP_3) | instskip(SKIP_4) | instid1(VALU_DEP_4)
	v_fma_f32 v201, v179, v203, -v249
	v_dual_mul_f32 v178, v84, v206 :: v_dual_mul_f32 v179, v87, v208
	v_mul_f32_e32 v180, v86, v208
	v_mul_f32_e32 v203, v182, v210
	v_fma_f32 v177, v84, v205, -v177
	v_fmac_f32_e32 v178, v85, v205
	s_waitcnt vmcnt(10)
	v_mul_f32_e32 v84, v184, v212
	v_fma_f32 v179, v86, v207, -v179
	s_waitcnt vmcnt(9) lgkmcnt(4)
	v_dual_mul_f32 v85, v183, v212 :: v_dual_mul_f32 v86, v186, v214
	s_waitcnt vmcnt(8)
	v_dual_fmac_f32 v180, v87, v207 :: v_dual_mul_f32 v205, v188, v216
	v_dual_mul_f32 v87, v185, v214 :: v_dual_mul_f32 v206, v187, v216
	s_delay_alu instid0(VALU_DEP_3)
	v_fmac_f32_e32 v85, v184, v211
	v_fma_f32 v203, v181, v209, -v203
	s_waitcnt vmcnt(7) lgkmcnt(3)
	v_mul_f32_e32 v181, v190, v218
	v_fmac_f32_e32 v204, v182, v209
	s_waitcnt vmcnt(4) lgkmcnt(2)
	v_dual_mul_f32 v182, v189, v218 :: v_dual_mul_f32 v209, v196, v224
	v_fma_f32 v84, v183, v211, -v84
	v_mul_f32_e32 v183, v192, v220
	v_dual_mul_f32 v184, v191, v220 :: v_dual_mul_f32 v207, v194, v222
	v_dual_mul_f32 v208, v193, v222 :: v_dual_fmac_f32 v87, v186, v213
	s_waitcnt vmcnt(3) lgkmcnt(1)
	v_dual_mul_f32 v186, v195, v224 :: v_dual_mul_f32 v211, v89, v226
	v_fmac_f32_e32 v206, v188, v215
	v_mul_f32_e32 v188, v88, v226
	s_waitcnt vmcnt(2)
	v_mul_f32_e32 v210, v90, v228
	v_fma_f32 v181, v189, v217, -v181
	s_waitcnt vmcnt(1) lgkmcnt(0)
	v_dual_mul_f32 v189, v200, v230 :: v_dual_fmac_f32 v182, v190, v217
	v_mul_f32_e32 v190, v199, v230
	v_fma_f32 v86, v185, v213, -v86
	v_mul_f32_e32 v213, v91, v228
	s_waitcnt vmcnt(0)
	v_mul_f32_e32 v214, v198, v232
	v_mul_f32_e32 v212, v197, v232
	v_fma_f32 v205, v187, v215, -v205
	v_fma_f32 v183, v191, v219, -v183
	v_fmac_f32_e32 v184, v192, v219
	v_fma_f32 v185, v195, v223, -v209
	v_fmac_f32_e32 v186, v196, v223
	v_fma_f32 v187, v88, v225, -v211
	v_fmac_f32_e32 v188, v89, v225
	v_fma_f32 v189, v199, v229, -v189
	v_fmac_f32_e32 v190, v200, v229
	v_fma_f32 v207, v193, v221, -v207
	v_fmac_f32_e32 v208, v194, v221
	v_fma_f32 v209, v90, v227, -v213
	v_fmac_f32_e32 v210, v91, v227
	v_fma_f32 v211, v197, v231, -v214
	v_fmac_f32_e32 v212, v198, v231
	ds_store_2addr_b64 v241, v[233:234], v[235:236] offset0:8 offset1:208
	ds_store_2addr_b64 v242, v[237:238], v[239:240] offset0:24 offset1:224
	;; [unrolled: 1-line block ×9, first 2 shown]
	ds_store_b64 v152, v[189:190] offset:30400
	s_waitcnt lgkmcnt(0)
	s_barrier
	buffer_gl0_inv
	ds_load_2addr_b64 v[84:87], v152 offset1:200
	ds_load_2addr_b64 v[177:180], v157 offset0:32 offset1:232
	ds_load_2addr_b64 v[181:184], v156 offset1:200
	ds_load_2addr_b64 v[185:188], v154 offset0:32 offset1:232
	;; [unrolled: 2-line block ×3, first 2 shown]
	ds_load_2addr_b64 v[193:196], v160 offset0:48 offset1:248
	ds_load_2addr_b64 v[197:200], v159 offset0:16 offset1:216
	;; [unrolled: 1-line block ×3, first 2 shown]
	s_waitcnt lgkmcnt(7)
	v_add_f32_e32 v205, v84, v177
	s_waitcnt lgkmcnt(6)
	v_sub_f32_e32 v225, v180, v184
	v_sub_f32_e32 v209, v177, v181
	s_waitcnt lgkmcnt(4)
	v_dual_add_f32 v210, v177, v88 :: v_dual_add_f32 v227, v178, v89
	v_sub_f32_e32 v211, v181, v177
	v_dual_sub_f32 v214, v177, v88 :: v_dual_sub_f32 v237, v187, v90
	v_dual_add_f32 v177, v86, v179 :: v_dual_add_f32 v206, v181, v185
	v_add_f32_e32 v229, v179, v90
	v_sub_f32_e32 v207, v178, v89
	v_dual_sub_f32 v208, v182, v186 :: v_dual_add_f32 v231, v180, v91
	v_dual_add_f32 v212, v85, v178 :: v_dual_sub_f32 v235, v186, v89
	v_dual_sub_f32 v215, v181, v185 :: v_dual_sub_f32 v216, v178, v182
	v_sub_f32_e32 v233, v185, v88
	v_dual_sub_f32 v217, v182, v178 :: v_dual_add_f32 v218, v183, v187
	s_waitcnt lgkmcnt(2)
	v_dual_sub_f32 v220, v179, v183 :: v_dual_add_f32 v239, v192, v196
	v_sub_f32_e32 v221, v183, v179
	s_waitcnt lgkmcnt(0)
	v_dual_add_f32 v222, v87, v180 :: v_dual_sub_f32 v241, v198, v202
	v_dual_sub_f32 v226, v184, v180 :: v_dual_sub_f32 v245, v197, v201
	v_dual_sub_f32 v228, v180, v91 :: v_dual_sub_f32 v247, v198, v194
	;; [unrolled: 1-line block ×3, first 2 shown]
	v_dual_sub_f32 v232, v88, v185 :: v_dual_add_f32 v177, v177, v183
	v_dual_sub_f32 v236, v90, v187 :: v_dual_add_f32 v181, v205, v181
	v_dual_add_f32 v178, v189, v193 :: v_dual_sub_f32 v205, v199, v195
	v_dual_add_f32 v179, v190, v194 :: v_dual_add_f32 v180, v191, v195
	s_delay_alu instid0(VALU_DEP_3)
	v_add_f32_e32 v181, v181, v185
	v_dual_add_f32 v213, v182, v186 :: v_dual_sub_f32 v224, v183, v187
	v_sub_f32_e32 v243, v197, v193
	v_dual_sub_f32 v234, v89, v186 :: v_dual_add_f32 v183, v222, v184
	v_sub_f32_e32 v238, v91, v188
	v_add_f32_e32 v240, v197, v201
	v_dual_sub_f32 v242, v193, v197 :: v_dual_add_f32 v239, v239, v200
	v_dual_add_f32 v244, v198, v202 :: v_dual_sub_f32 v251, v188, v91
	v_dual_sub_f32 v246, v194, v198 :: v_dual_add_f32 v185, v177, v187
	v_add_f32_e32 v248, v199, v203
	v_sub_f32_e32 v250, v195, v199
	v_dual_add_f32 v182, v212, v182 :: v_dual_add_f32 v183, v183, v188
	v_dual_sub_f32 v212, v199, v203 :: v_dual_add_f32 v197, v178, v197
	v_dual_add_f32 v198, v179, v198 :: v_dual_add_f32 v199, v180, v199
	ds_load_2addr_b64 v[177:180], v155 offset0:16 offset1:216
	v_sub_f32_e32 v219, v184, v188
	v_add_f32_e32 v223, v184, v188
	v_add_f32_e32 v184, v200, v204
	v_sub_f32_e32 v222, v196, v200
	v_sub_f32_e32 v200, v200, v196
	v_add_f32_e32 v182, v182, v186
	v_fma_f32 v240, -0.5, v240, v189
	v_add_f32_e32 v181, v181, v88
	v_add_f32_e32 v217, v217, v235
	s_waitcnt lgkmcnt(0)
	s_barrier
	buffer_gl0_inv
	v_dual_sub_f32 v186, v194, v178 :: v_dual_add_f32 v187, v193, v177
	v_dual_sub_f32 v188, v193, v177 :: v_dual_add_f32 v193, v194, v178
	v_dual_add_f32 v194, v196, v180 :: v_dual_sub_f32 v253, v195, v179
	v_fma_f32 v254, -0.5, v184, v192
	v_sub_f32_e32 v184, v204, v180
	v_sub_f32_e32 v252, v196, v180
	s_delay_alu instid0(VALU_DEP_4) | instskip(SKIP_1) | instid1(VALU_DEP_4)
	v_fmac_f32_e32 v192, -0.5, v194
	v_dual_add_f32 v196, v195, v179 :: v_dual_sub_f32 v235, v180, v204
	v_add_f32_e32 v194, v200, v184
	v_add_f32_e32 v184, v209, v232
	v_sub_f32_e32 v209, v201, v177
	v_add_f32_e32 v195, v211, v233
	v_sub_f32_e32 v211, v178, v202
	v_dual_sub_f32 v232, v202, v178 :: v_dual_sub_f32 v233, v179, v203
	s_delay_alu instid0(VALU_DEP_4) | instskip(SKIP_4) | instid1(VALU_DEP_3)
	v_add_f32_e32 v209, v243, v209
	v_fma_f32 v243, -0.5, v244, v190
	v_sub_f32_e32 v200, v177, v201
	v_dual_add_f32 v216, v216, v234 :: v_dual_add_f32 v211, v246, v211
	v_fma_f32 v244, -0.5, v248, v191
	v_add_f32_e32 v200, v242, v200
	v_fma_f32 v242, -0.5, v187, v189
	v_fma_f32 v187, -0.5, v193, v190
	;; [unrolled: 1-line block ×4, first 2 shown]
	v_dual_add_f32 v189, v197, v201 :: v_dual_sub_f32 v234, v203, v179
	v_add_f32_e32 v197, v199, v203
	s_delay_alu instid0(VALU_DEP_3) | instskip(SKIP_1) | instid1(VALU_DEP_4)
	v_dual_add_f32 v210, v183, v91 :: v_dual_fmamk_f32 v201, v208, 0x3f737871, v84
	v_fmamk_f32 v183, v245, 0xbf737871, v187
	v_dual_add_f32 v177, v189, v177 :: v_dual_fmac_f32 v84, 0xbf737871, v208
	v_fma_f32 v193, -0.5, v196, v191
	v_fma_f32 v196, -0.5, v213, v85
	v_dual_add_f32 v232, v247, v232 :: v_dual_add_f32 v191, v198, v202
	v_dual_add_f32 v198, v239, v204 :: v_dual_add_f32 v213, v197, v179
	v_dual_add_f32 v206, v185, v90 :: v_dual_fmac_f32 v201, 0xbf167918, v207
	v_fmac_f32_e32 v183, 0x3f167918, v188
	v_dual_sub_f32 v179, v181, v177 :: v_dual_fmac_f32 v84, 0x3f167918, v207
	v_fma_f32 v85, -0.5, v227, v85
	v_fmamk_f32 v204, v212, 0xbf737871, v192
	v_fmac_f32_e32 v192, 0x3f737871, v212
	v_fmamk_f32 v199, v207, 0xbf737871, v190
	v_fmamk_f32 v91, v188, 0x3f737871, v243
	v_fmac_f32_e32 v243, 0xbf737871, v188
	v_fmac_f32_e32 v187, 0x3f737871, v245
	v_dual_fmamk_f32 v203, v214, 0x3f737871, v196 :: v_dual_add_f32 v88, v181, v177
	v_fmac_f32_e32 v201, 0x3e9e377a, v195
	v_dual_fmac_f32 v84, 0x3e9e377a, v195 :: v_dual_fmac_f32 v183, 0x3e9e377a, v232
	v_fmamk_f32 v90, v241, 0x3f737871, v242
	v_fmac_f32_e32 v242, 0xbf737871, v241
	v_dual_add_f32 v182, v182, v89 :: v_dual_fmac_f32 v199, 0xbf167918, v208
	v_dual_add_f32 v178, v191, v178 :: v_dual_fmac_f32 v243, 0xbf167918, v245
	v_fmac_f32_e32 v190, 0x3f737871, v207
	v_fmamk_f32 v197, v215, 0xbf737871, v85
	v_fmac_f32_e32 v85, 0x3f737871, v215
	s_delay_alu instid0(VALU_DEP_4) | instskip(SKIP_4) | instid1(VALU_DEP_3)
	v_dual_add_f32 v89, v182, v178 :: v_dual_fmac_f32 v192, 0xbf167918, v253
	v_fmac_f32_e32 v187, 0xbf167918, v188
	v_fmac_f32_e32 v242, 0x3f167918, v186
	v_dual_fmac_f32 v190, 0x3f167918, v208 :: v_dual_fmac_f32 v197, 0x3f167918, v214
	v_dual_add_f32 v198, v198, v180 :: v_dual_fmac_f32 v203, 0x3f167918, v215
	v_dual_fmac_f32 v242, 0x3e9e377a, v209 :: v_dual_fmac_f32 v187, 0x3e9e377a, v232
	v_fmac_f32_e32 v91, 0x3f167918, v245
	v_dual_fmac_f32 v192, 0x3e9e377a, v194 :: v_dual_fmac_f32 v199, 0x3e9e377a, v184
	v_fmamk_f32 v202, v186, 0xbf737871, v240
	s_delay_alu instid0(VALU_DEP_3)
	v_dual_sub_f32 v180, v182, v178 :: v_dual_fmac_f32 v91, 0x3e9e377a, v211
	v_dual_fmac_f32 v190, 0x3e9e377a, v184 :: v_dual_fmac_f32 v243, 0x3e9e377a, v211
	v_fmac_f32_e32 v240, 0x3f737871, v186
	v_mul_f32_e32 v182, 0xbf737871, v187
	v_dual_fmac_f32 v202, 0xbf167918, v241 :: v_dual_fmac_f32 v85, 0xbf167918, v214
	v_dual_fmac_f32 v203, 0x3e9e377a, v216 :: v_dual_mul_f32 v188, 0x3e9e377a, v183
	s_delay_alu instid0(VALU_DEP_4) | instskip(NEXT) | instid1(VALU_DEP_4)
	v_fmac_f32_e32 v240, 0x3f167918, v241
	v_fmac_f32_e32 v182, 0xbe9e377a, v242
	s_delay_alu instid0(VALU_DEP_4)
	v_fmac_f32_e32 v202, 0x3e9e377a, v200
	v_mul_f32_e32 v195, 0xbe9e377a, v192
	v_mul_f32_e32 v177, 0xbf167918, v91
	v_fmac_f32_e32 v240, 0x3e9e377a, v200
	v_mul_f32_e32 v200, 0xbf737871, v192
	v_dual_mul_f32 v192, 0xbe9e377a, v187 :: v_dual_add_f32 v187, v84, v182
	v_fmac_f32_e32 v90, 0xbf167918, v186
	v_fmamk_f32 v211, v249, 0x3f737871, v193
	v_dual_fmac_f32 v193, 0xbf737871, v249 :: v_dual_mul_f32 v178, 0xbf737871, v183
	s_delay_alu instid0(VALU_DEP_3) | instskip(NEXT) | instid1(VALU_DEP_2)
	v_dual_sub_f32 v189, v84, v182 :: v_dual_fmac_f32 v90, 0x3e9e377a, v209
	v_dual_mul_f32 v186, 0x3f167918, v202 :: v_dual_fmac_f32 v193, 0x3f167918, v252
	v_fmac_f32_e32 v177, 0x3f4f1bbd, v202
	v_fmac_f32_e32 v204, 0x3f167918, v253
	s_delay_alu instid0(VALU_DEP_4) | instskip(SKIP_1) | instid1(VALU_DEP_4)
	v_fmac_f32_e32 v188, 0x3f737871, v90
	v_dual_fmac_f32 v178, 0x3e9e377a, v90 :: v_dual_fmac_f32 v197, 0x3e9e377a, v217
	v_dual_fmac_f32 v186, 0x3f4f1bbd, v91 :: v_dual_sub_f32 v181, v199, v177
	v_fma_f32 v209, -0.5, v223, v87
	v_dual_fmac_f32 v87, -0.5, v231 :: v_dual_add_f32 v90, v199, v177
	v_add_f32_e32 v199, v205, v234
	v_fmac_f32_e32 v211, 0xbf167918, v252
	v_fmac_f32_e32 v204, 0x3e9e377a, v194
	v_dual_mul_f32 v184, 0xbf167918, v243 :: v_dual_add_f32 v91, v203, v186
	s_delay_alu instid0(VALU_DEP_4) | instskip(NEXT) | instid1(VALU_DEP_4)
	v_dual_fmac_f32 v193, 0x3e9e377a, v199 :: v_dual_add_f32 v202, v221, v237
	v_fmac_f32_e32 v211, 0x3e9e377a, v199
	s_delay_alu instid0(VALU_DEP_4) | instskip(SKIP_1) | instid1(VALU_DEP_4)
	v_mul_f32_e32 v194, 0xbf737871, v204
	v_dual_fmac_f32 v85, 0x3e9e377a, v217 :: v_dual_sub_f32 v182, v203, v186
	v_fmac_f32_e32 v195, 0x3f737871, v193
	v_fmac_f32_e32 v184, 0xbf4f1bbd, v240
	;; [unrolled: 1-line block ×4, first 2 shown]
	v_fmamk_f32 v214, v224, 0xbf737871, v87
	v_fmac_f32_e32 v87, 0x3f737871, v224
	v_add_f32_e32 v177, v190, v184
	v_sub_f32_e32 v191, v190, v184
	v_add_f32_e32 v186, v197, v188
	v_sub_f32_e32 v183, v201, v178
	v_dual_fmac_f32 v87, 0xbf167918, v230 :: v_dual_sub_f32 v184, v197, v188
	v_fma_f32 v197, -0.5, v229, v86
	v_add_f32_e32 v185, v201, v178
	v_fmac_f32_e32 v192, 0x3f737871, v242
	v_mul_f32_e32 v84, 0xbf4f1bbd, v243
	v_fma_f32 v86, -0.5, v218, v86
	v_fmamk_f32 v201, v219, 0x3f737871, v197
	v_fmac_f32_e32 v196, 0xbf167918, v215
	v_add_f32_e32 v215, v226, v251
	v_dual_fmac_f32 v197, 0xbf737871, v219 :: v_dual_sub_f32 v190, v85, v192
	s_delay_alu instid0(VALU_DEP_4) | instskip(NEXT) | instid1(VALU_DEP_3)
	v_fmac_f32_e32 v201, 0xbf167918, v228
	v_dual_fmac_f32 v196, 0x3e9e377a, v216 :: v_dual_fmac_f32 v87, 0x3e9e377a, v215
	s_delay_alu instid0(VALU_DEP_3) | instskip(NEXT) | instid1(VALU_DEP_3)
	v_fmac_f32_e32 v197, 0x3f167918, v228
	v_dual_add_f32 v188, v85, v192 :: v_dual_fmac_f32 v201, 0x3e9e377a, v202
	v_dual_fmac_f32 v200, 0xbe9e377a, v193 :: v_dual_add_f32 v193, v220, v236
	v_fmac_f32_e32 v84, 0x3f167918, v240
	v_fmamk_f32 v216, v253, 0x3f737871, v254
	s_delay_alu instid0(VALU_DEP_4) | instskip(NEXT) | instid1(VALU_DEP_3)
	v_dual_fmac_f32 v254, 0xbf737871, v253 :: v_dual_sub_f32 v199, v201, v194
	v_dual_sub_f32 v207, v206, v213 :: v_dual_add_f32 v178, v196, v84
	v_sub_f32_e32 v192, v196, v84
	v_add_f32_e32 v196, v87, v195
	v_sub_f32_e32 v85, v87, v195
	v_fmamk_f32 v87, v228, 0xbf737871, v86
	v_dual_fmac_f32 v197, 0x3e9e377a, v202 :: v_dual_add_f32 v202, v222, v235
	v_fmac_f32_e32 v216, 0x3f167918, v212
	s_delay_alu instid0(VALU_DEP_3) | instskip(NEXT) | instid1(VALU_DEP_2)
	v_dual_fmac_f32 v254, 0xbf167918, v212 :: v_dual_fmac_f32 v87, 0xbf167918, v219
	v_dual_add_f32 v195, v197, v200 :: v_dual_fmac_f32 v216, 0x3e9e377a, v202
	s_delay_alu instid0(VALU_DEP_2)
	v_dual_fmac_f32 v254, 0x3e9e377a, v202 :: v_dual_fmac_f32 v87, 0x3e9e377a, v193
	v_sub_f32_e32 v84, v197, v200
	v_dual_fmamk_f32 v200, v252, 0xbf737871, v244 :: v_dual_add_f32 v197, v250, v233
	v_fmac_f32_e32 v244, 0x3f737871, v252
	v_mul_f32_e32 v202, 0xbf167918, v216
	v_mul_f32_e32 v208, 0xbf167918, v254
	s_delay_alu instid0(VALU_DEP_4) | instskip(NEXT) | instid1(VALU_DEP_4)
	v_fmac_f32_e32 v200, 0xbf167918, v249
	v_fmac_f32_e32 v244, 0x3f167918, v249
	s_delay_alu instid0(VALU_DEP_2) | instskip(NEXT) | instid1(VALU_DEP_2)
	v_fmac_f32_e32 v200, 0x3e9e377a, v197
	v_fmac_f32_e32 v244, 0x3e9e377a, v197
	s_delay_alu instid0(VALU_DEP_2) | instskip(SKIP_1) | instid1(VALU_DEP_2)
	v_fmac_f32_e32 v202, 0x3f4f1bbd, v200
	v_fmac_f32_e32 v86, 0x3f737871, v228
	v_dual_fmac_f32 v208, 0xbf4f1bbd, v244 :: v_dual_sub_f32 v197, v87, v202
	s_delay_alu instid0(VALU_DEP_2) | instskip(SKIP_1) | instid1(VALU_DEP_2)
	v_dual_fmac_f32 v86, 0x3f167918, v219 :: v_dual_add_f32 v203, v87, v202
	v_add_f32_e32 v202, v210, v198
	v_dual_fmac_f32 v86, 0x3e9e377a, v193 :: v_dual_add_f32 v193, v201, v194
	v_fmamk_f32 v194, v230, 0x3f737871, v209
	v_fmac_f32_e32 v209, 0xbf737871, v230
	s_delay_alu instid0(VALU_DEP_3) | instskip(SKIP_2) | instid1(VALU_DEP_4)
	v_dual_fmac_f32 v214, 0x3f167918, v230 :: v_dual_add_f32 v205, v86, v208
	v_sub_f32_e32 v86, v86, v208
	v_sub_f32_e32 v208, v210, v198
	v_dual_add_f32 v198, v225, v238 :: v_dual_fmac_f32 v209, 0xbf167918, v224
	v_fmac_f32_e32 v194, 0x3f167918, v224
	v_mul_f32_e32 v210, 0xbf4f1bbd, v254
	v_dual_fmac_f32 v214, 0x3e9e377a, v215 :: v_dual_add_f32 v201, v206, v213
	s_delay_alu instid0(VALU_DEP_4) | instskip(SKIP_4) | instid1(VALU_DEP_4)
	v_fmac_f32_e32 v209, 0x3e9e377a, v198
	v_mul_f32_e32 v87, 0x3f167918, v200
	v_mul_f32_e32 v200, 0x3e9e377a, v204
	v_fmac_f32_e32 v194, 0x3e9e377a, v198
	v_fmac_f32_e32 v210, 0x3f167918, v244
	;; [unrolled: 1-line block ×3, first 2 shown]
	s_delay_alu instid0(VALU_DEP_4) | instskip(NEXT) | instid1(VALU_DEP_3)
	v_fmac_f32_e32 v200, 0x3f737871, v211
	v_add_f32_e32 v206, v209, v210
	s_delay_alu instid0(VALU_DEP_3) | instskip(SKIP_1) | instid1(VALU_DEP_4)
	v_add_f32_e32 v204, v194, v87
	v_sub_f32_e32 v198, v194, v87
	v_dual_add_f32 v194, v214, v200 :: v_dual_sub_f32 v87, v209, v210
	v_sub_f32_e32 v200, v214, v200
	ds_store_b128 v162, v[88:91]
	ds_store_b128 v162, v[185:188] offset:16
	ds_store_b128 v162, v[177:180] offset:32
	;; [unrolled: 1-line block ×4, first 2 shown]
	ds_store_b128 v163, v[201:204]
	ds_store_b128 v163, v[193:196] offset:16
	ds_store_b128 v163, v[205:208] offset:32
	;; [unrolled: 1-line block ×4, first 2 shown]
	s_waitcnt lgkmcnt(0)
	s_barrier
	buffer_gl0_inv
	ds_load_2addr_b64 v[84:87], v161 offset0:16 offset1:216
	ds_load_2addr_b64 v[88:91], v157 offset0:32 offset1:232
	;; [unrolled: 1-line block ×3, first 2 shown]
	ds_load_2addr_b64 v[181:184], v156 offset1:200
	ds_load_2addr_b64 v[185:188], v159 offset0:16 offset1:216
	ds_load_2addr_b64 v[189:192], v154 offset0:32 offset1:232
	;; [unrolled: 1-line block ×3, first 2 shown]
	ds_load_2addr_b64 v[197:200], v153 offset1:200
	ds_load_2addr_b64 v[201:204], v155 offset0:16 offset1:216
	s_waitcnt lgkmcnt(8)
	v_mul_f32_e32 v162, v29, v85
	v_mul_f32_e32 v29, v29, v84
	s_waitcnt lgkmcnt(7)
	s_delay_alu instid0(VALU_DEP_2) | instskip(NEXT) | instid1(VALU_DEP_2)
	v_dual_mul_f32 v163, v31, v89 :: v_dual_fmac_f32 v162, v28, v84
	v_fma_f32 v28, v28, v85, -v29
	v_mul_f32_e32 v29, v31, v88
	s_waitcnt lgkmcnt(6)
	v_mul_f32_e32 v31, v25, v178
	s_waitcnt lgkmcnt(5)
	v_dual_mul_f32 v25, v25, v177 :: v_dual_mul_f32 v84, v27, v182
	v_mul_f32_e32 v27, v27, v181
	v_fmac_f32_e32 v163, v30, v88
	v_fmac_f32_e32 v31, v24, v177
	s_delay_alu instid0(VALU_DEP_4)
	v_fma_f32 v24, v24, v178, -v25
	v_fmac_f32_e32 v84, v26, v181
	v_fma_f32 v25, v26, v182, -v27
	s_waitcnt lgkmcnt(4)
	v_mul_f32_e32 v26, v21, v186
	v_mul_f32_e32 v21, v21, v185
	s_waitcnt lgkmcnt(3)
	v_mul_f32_e32 v27, v23, v190
	v_mul_f32_e32 v23, v23, v189
	v_fma_f32 v29, v30, v89, -v29
	s_waitcnt lgkmcnt(2)
	v_mul_f32_e32 v30, v17, v194
	v_fmac_f32_e32 v26, v20, v185
	v_fma_f32 v20, v20, v186, -v21
	v_fmac_f32_e32 v27, v22, v189
	v_fma_f32 v21, v22, v190, -v23
	s_waitcnt lgkmcnt(1)
	v_dual_mul_f32 v17, v17, v193 :: v_dual_mul_f32 v22, v19, v198
	v_mul_f32_e32 v19, v19, v197
	s_waitcnt lgkmcnt(0)
	v_mul_f32_e32 v23, v136, v202
	v_dual_mul_f32 v85, v136, v201 :: v_dual_mul_f32 v178, v3, v200
	v_dual_mul_f32 v3, v3, v199 :: v_dual_fmac_f32 v30, v16, v193
	v_fma_f32 v88, v16, v194, -v17
	v_fma_f32 v89, v18, v198, -v19
	v_fmac_f32_e32 v23, v135, v201
	v_fma_f32 v85, v135, v202, -v85
	v_mul_f32_e32 v135, v15, v91
	v_mul_f32_e32 v136, v15, v90
	v_fma_f32 v181, v2, v200, -v3
	v_sub_f32_e32 v3, v25, v21
	v_fmac_f32_e32 v22, v18, v197
	ds_load_2addr_b64 v[15:18], v152 offset1:200
	v_mul_f32_e32 v19, v13, v87
	v_mul_f32_e32 v13, v13, v86
	v_fmac_f32_e32 v135, v14, v90
	v_fmac_f32_e32 v178, v2, v199
	s_waitcnt lgkmcnt(0)
	v_fmac_f32_e32 v19, v12, v86
	v_fma_f32 v12, v12, v87, -v13
	v_fma_f32 v86, v14, v91, -v136
	v_mul_f32_e32 v13, v9, v180
	v_dual_mul_f32 v14, v9, v179 :: v_dual_mul_f32 v87, v11, v184
	v_mul_f32_e32 v11, v11, v183
	v_mul_f32_e32 v9, v5, v188
	;; [unrolled: 1-line block ×3, first 2 shown]
	s_delay_alu instid0(VALU_DEP_4) | instskip(NEXT) | instid1(VALU_DEP_4)
	v_dual_mul_f32 v136, v1, v196 :: v_dual_fmac_f32 v87, v10, v183
	v_fma_f32 v90, v10, v184, -v11
	v_mul_f32_e32 v10, v1, v195
	s_delay_alu instid0(VALU_DEP_4)
	v_fma_f32 v1, v4, v188, -v5
	v_add_f32_e32 v5, v15, v163
	v_mul_f32_e32 v91, v7, v192
	v_mul_f32_e32 v7, v7, v191
	v_fmac_f32_e32 v13, v8, v179
	v_mul_f32_e32 v179, v134, v204
	s_delay_alu instid0(VALU_DEP_4) | instskip(NEXT) | instid1(VALU_DEP_4)
	v_dual_add_f32 v2, v5, v84 :: v_dual_fmac_f32 v91, v6, v191
	v_fma_f32 v177, v6, v192, -v7
	v_dual_sub_f32 v5, v163, v84 :: v_dual_sub_f32 v6, v22, v27
	s_delay_alu instid0(VALU_DEP_3)
	v_add_f32_e32 v2, v2, v27
	v_fmac_f32_e32 v179, v133, v203
	v_fmac_f32_e32 v9, v4, v187
	s_barrier
	v_add_f32_e32 v5, v5, v6
	v_dual_add_f32 v183, v2, v22 :: v_dual_fmac_f32 v136, v0, v195
	v_fma_f32 v0, v0, v196, -v10
	v_mul_f32_e32 v10, v134, v203
	v_sub_f32_e32 v2, v84, v163
	v_sub_f32_e32 v6, v27, v22
	v_add_f32_e32 v7, v163, v22
	v_fma_f32 v8, v8, v180, -v14
	v_fma_f32 v133, v133, v204, -v10
	v_add_f32_e32 v10, v25, v21
	v_add_f32_e32 v2, v2, v6
	v_sub_f32_e32 v6, v163, v22
	v_fma_f32 v134, -0.5, v7, v15
	v_add_f32_e32 v7, v16, v29
	v_fma_f32 v185, -0.5, v10, v16
	v_add_f32_e32 v4, v84, v27
	v_sub_f32_e32 v14, v30, v23
	v_fmamk_f32 v184, v3, 0x3f737871, v134
	v_fmac_f32_e32 v134, 0xbf737871, v3
	v_fmamk_f32 v163, v6, 0x3f737871, v185
	v_fma_f32 v180, -0.5, v4, v15
	v_dual_sub_f32 v4, v29, v89 :: v_dual_fmac_f32 v185, 0xbf737871, v6
	v_sub_f32_e32 v10, v89, v21
	v_sub_f32_e32 v22, v20, v24
	s_delay_alu instid0(VALU_DEP_3)
	v_dual_sub_f32 v15, v85, v88 :: v_dual_fmamk_f32 v182, v4, 0xbf737871, v180
	v_fmac_f32_e32 v180, 0x3f737871, v4
	v_fmac_f32_e32 v184, 0xbf167918, v4
	;; [unrolled: 1-line block ×3, first 2 shown]
	v_add_f32_e32 v4, v29, v89
	v_fmac_f32_e32 v182, 0xbf167918, v3
	v_dual_fmac_f32 v180, 0x3f167918, v3 :: v_dual_add_f32 v3, v7, v25
	v_dual_sub_f32 v7, v29, v25 :: v_dual_fmac_f32 v184, 0x3e9e377a, v2
	v_fmac_f32_e32 v134, 0x3e9e377a, v2
	s_delay_alu instid0(VALU_DEP_3) | instskip(NEXT) | instid1(VALU_DEP_4)
	v_fmac_f32_e32 v180, 0x3e9e377a, v5
	v_add_f32_e32 v3, v3, v21
	s_delay_alu instid0(VALU_DEP_4) | instskip(SKIP_2) | instid1(VALU_DEP_4)
	v_add_f32_e32 v2, v7, v10
	v_dual_fmac_f32 v182, 0x3e9e377a, v5 :: v_dual_sub_f32 v5, v84, v27
	v_fma_f32 v27, -0.5, v4, v16
	v_add_f32_e32 v84, v3, v89
	v_sub_f32_e32 v3, v25, v29
	v_dual_sub_f32 v4, v21, v89 :: v_dual_add_f32 v7, v162, v31
	v_fmac_f32_e32 v163, 0x3f167918, v5
	v_fmac_f32_e32 v185, 0xbf167918, v5
	s_delay_alu instid0(VALU_DEP_3) | instskip(NEXT) | instid1(VALU_DEP_4)
	v_dual_fmamk_f32 v186, v5, 0xbf737871, v27 :: v_dual_add_f32 v3, v3, v4
	v_add_f32_e32 v4, v7, v26
	s_delay_alu instid0(VALU_DEP_4)
	v_fmac_f32_e32 v163, 0x3e9e377a, v2
	v_fmac_f32_e32 v27, 0x3f737871, v5
	v_add_f32_e32 v5, v26, v30
	v_fmac_f32_e32 v185, 0x3e9e377a, v2
	v_add_f32_e32 v2, v4, v30
	v_add_f32_e32 v4, v31, v23
	v_sub_f32_e32 v7, v23, v30
	v_fma_f32 v5, -0.5, v5, v162
	v_sub_f32_e32 v10, v26, v31
	v_add_f32_e32 v16, v2, v23
	v_sub_f32_e32 v2, v20, v88
	v_fmac_f32_e32 v162, -0.5, v4
	v_sub_f32_e32 v4, v31, v26
	buffer_gl0_inv
	v_fmamk_f32 v11, v2, 0x3f737871, v162
	v_fmac_f32_e32 v186, 0x3f167918, v6
	v_dual_fmac_f32 v27, 0xbf167918, v6 :: v_dual_sub_f32 v6, v24, v85
	v_fmac_f32_e32 v162, 0xbf737871, v2
	s_delay_alu instid0(VALU_DEP_3) | instskip(NEXT) | instid1(VALU_DEP_3)
	v_fmac_f32_e32 v186, 0x3e9e377a, v3
	v_fmac_f32_e32 v27, 0x3e9e377a, v3
	s_delay_alu instid0(VALU_DEP_4) | instskip(SKIP_3) | instid1(VALU_DEP_4)
	v_fmamk_f32 v3, v6, 0xbf737871, v5
	v_dual_fmac_f32 v5, 0x3f737871, v6 :: v_dual_add_f32 v4, v4, v7
	v_fmac_f32_e32 v11, 0xbf167918, v6
	v_add_f32_e32 v7, v10, v14
	v_fmac_f32_e32 v3, 0xbf167918, v2
	s_delay_alu instid0(VALU_DEP_4) | instskip(SKIP_1) | instid1(VALU_DEP_4)
	v_fmac_f32_e32 v5, 0x3f167918, v2
	v_fmac_f32_e32 v162, 0x3f167918, v6
	v_dual_add_f32 v6, v28, v24 :: v_dual_fmac_f32 v11, 0x3e9e377a, v7
	s_delay_alu instid0(VALU_DEP_4) | instskip(SKIP_3) | instid1(VALU_DEP_3)
	v_fmac_f32_e32 v3, 0x3e9e377a, v4
	v_add_f32_e32 v2, v20, v88
	v_dual_fmac_f32 v5, 0x3e9e377a, v4 :: v_dual_add_f32 v4, v24, v85
	v_fmac_f32_e32 v162, 0x3e9e377a, v7
	v_fma_f32 v14, -0.5, v2, v28
	v_sub_f32_e32 v2, v31, v23
	s_delay_alu instid0(VALU_DEP_4) | instskip(SKIP_2) | instid1(VALU_DEP_4)
	v_fmac_f32_e32 v28, -0.5, v4
	v_sub_f32_e32 v4, v24, v20
	v_sub_f32_e32 v23, v88, v85
	v_fmamk_f32 v7, v2, 0x3f737871, v14
	v_sub_f32_e32 v10, v26, v30
	s_delay_alu instid0(VALU_DEP_4) | instskip(NEXT) | instid1(VALU_DEP_4)
	v_add_f32_e32 v4, v4, v15
	v_dual_add_f32 v15, v22, v23 :: v_dual_fmac_f32 v14, 0xbf737871, v2
	s_delay_alu instid0(VALU_DEP_3) | instskip(SKIP_1) | instid1(VALU_DEP_2)
	v_fmamk_f32 v21, v10, 0xbf737871, v28
	v_fmac_f32_e32 v28, 0x3f737871, v10
	v_fmac_f32_e32 v21, 0x3f167918, v2
	s_delay_alu instid0(VALU_DEP_2) | instskip(NEXT) | instid1(VALU_DEP_2)
	v_fmac_f32_e32 v28, 0xbf167918, v2
	v_dual_add_f32 v2, v6, v20 :: v_dual_fmac_f32 v21, 0x3e9e377a, v15
	s_delay_alu instid0(VALU_DEP_2) | instskip(NEXT) | instid1(VALU_DEP_2)
	v_fmac_f32_e32 v28, 0x3e9e377a, v15
	v_dual_add_f32 v2, v2, v88 :: v_dual_mul_f32 v23, 0xbf737871, v21
	s_delay_alu instid0(VALU_DEP_2) | instskip(NEXT) | instid1(VALU_DEP_2)
	v_mul_f32_e32 v25, 0xbf737871, v28
	v_add_f32_e32 v29, v2, v85
	v_mul_f32_e32 v85, 0x3e9e377a, v21
	v_dual_add_f32 v21, v87, v91 :: v_dual_mul_f32 v28, 0xbe9e377a, v28
	s_delay_alu instid0(VALU_DEP_4) | instskip(SKIP_1) | instid1(VALU_DEP_4)
	v_fmac_f32_e32 v25, 0xbe9e377a, v162
	v_fmac_f32_e32 v23, 0x3e9e377a, v11
	;; [unrolled: 1-line block ×3, first 2 shown]
	s_delay_alu instid0(VALU_DEP_4)
	v_fma_f32 v89, -0.5, v21, v17
	v_sub_f32_e32 v21, v84, v29
	v_fmac_f32_e32 v7, 0x3f167918, v10
	v_fmac_f32_e32 v14, 0xbf167918, v10
	v_add_f32_e32 v10, v134, v25
	v_sub_f32_e32 v26, v134, v25
	s_delay_alu instid0(VALU_DEP_4) | instskip(SKIP_3) | instid1(VALU_DEP_4)
	v_dual_sub_f32 v134, v86, v181 :: v_dual_fmac_f32 v7, 0x3e9e377a, v4
	v_dual_sub_f32 v25, v186, v85 :: v_dual_fmac_f32 v28, 0x3f737871, v162
	v_sub_f32_e32 v20, v183, v16
	v_add_f32_e32 v162, v135, v178
	v_mul_f32_e32 v22, 0xbf167918, v7
	v_mul_f32_e32 v31, 0x3f4f1bbd, v7
	v_add_f32_e32 v11, v27, v28
	v_sub_f32_e32 v27, v27, v28
	v_dual_fmac_f32 v14, 0x3e9e377a, v4 :: v_dual_add_f32 v7, v186, v85
	v_fmamk_f32 v85, v134, 0xbf737871, v89
	v_dual_fmac_f32 v89, 0x3f737871, v134 :: v_dual_add_f32 v2, v183, v16
	s_delay_alu instid0(VALU_DEP_3)
	v_mul_f32_e32 v30, 0xbf167918, v14
	v_mul_f32_e32 v88, 0xbf4f1bbd, v14
	v_fmac_f32_e32 v22, 0x3f4f1bbd, v3
	v_fmac_f32_e32 v31, 0x3f167918, v3
	v_add_f32_e32 v3, v84, v29
	v_fmac_f32_e32 v30, 0xbf4f1bbd, v5
	v_add_f32_e32 v6, v184, v23
	s_delay_alu instid0(VALU_DEP_4) | instskip(SKIP_1) | instid1(VALU_DEP_4)
	v_dual_fmac_f32 v88, 0x3f167918, v5 :: v_dual_add_f32 v5, v163, v31
	v_sub_f32_e32 v24, v184, v23
	v_add_f32_e32 v14, v180, v30
	v_sub_f32_e32 v16, v180, v30
	v_add_f32_e32 v30, v17, v135
	v_sub_f32_e32 v23, v163, v31
	v_sub_f32_e32 v31, v135, v87
	;; [unrolled: 1-line block ×3, first 2 shown]
	v_fma_f32 v162, -0.5, v162, v17
	v_add_f32_e32 v29, v30, v87
	v_sub_f32_e32 v30, v90, v177
	v_add_f32_e32 v163, v18, v86
	v_add_f32_e32 v15, v185, v88
	v_sub_f32_e32 v17, v185, v88
	s_delay_alu instid0(VALU_DEP_4) | instskip(SKIP_2) | instid1(VALU_DEP_3)
	v_dual_add_f32 v28, v29, v91 :: v_dual_fmac_f32 v85, 0xbf167918, v30
	v_dual_add_f32 v29, v31, v84 :: v_dual_fmamk_f32 v88, v30, 0x3f737871, v162
	v_sub_f32_e32 v31, v91, v178
	v_add_f32_e32 v84, v28, v178
	v_dual_sub_f32 v28, v87, v135 :: v_dual_fmac_f32 v89, 0x3f167918, v30
	v_add_f32_e32 v180, v90, v177
	v_fmac_f32_e32 v162, 0xbf737871, v30
	v_dual_add_f32 v30, v163, v90 :: v_dual_fmac_f32 v85, 0x3e9e377a, v29
	s_delay_alu instid0(VALU_DEP_4) | instskip(NEXT) | instid1(VALU_DEP_4)
	v_add_f32_e32 v28, v28, v31
	v_fma_f32 v163, -0.5, v180, v18
	v_sub_f32_e32 v31, v135, v178
	v_dual_add_f32 v4, v182, v22 :: v_dual_fmac_f32 v89, 0x3e9e377a, v29
	v_add_f32_e32 v29, v30, v177
	v_add_f32_e32 v30, v86, v181
	v_fmac_f32_e32 v88, 0xbf167918, v134
	v_fmac_f32_e32 v162, 0x3f167918, v134
	v_fmamk_f32 v134, v31, 0x3f737871, v163
	v_sub_f32_e32 v87, v87, v91
	v_sub_f32_e32 v91, v86, v90
	v_dual_sub_f32 v135, v181, v177 :: v_dual_fmac_f32 v18, -0.5, v30
	v_fmac_f32_e32 v88, 0x3e9e377a, v28
	v_fmac_f32_e32 v162, 0x3e9e377a, v28
	v_add_f32_e32 v178, v29, v181
	v_fmac_f32_e32 v134, 0x3f167918, v87
	v_add_f32_e32 v28, v91, v135
	v_fmamk_f32 v91, v87, 0xbf737871, v18
	v_dual_sub_f32 v29, v90, v86 :: v_dual_sub_f32 v30, v177, v181
	v_fmac_f32_e32 v163, 0xbf737871, v31
	s_delay_alu instid0(VALU_DEP_4) | instskip(NEXT) | instid1(VALU_DEP_4)
	v_fmac_f32_e32 v134, 0x3e9e377a, v28
	v_dual_add_f32 v86, v19, v13 :: v_dual_fmac_f32 v91, 0x3f167918, v31
	s_delay_alu instid0(VALU_DEP_4) | instskip(NEXT) | instid1(VALU_DEP_2)
	v_dual_add_f32 v29, v29, v30 :: v_dual_fmac_f32 v18, 0x3f737871, v87
	v_dual_fmac_f32 v163, 0xbf167918, v87 :: v_dual_add_f32 v30, v86, v9
	s_delay_alu instid0(VALU_DEP_2) | instskip(NEXT) | instid1(VALU_DEP_3)
	v_dual_add_f32 v86, v9, v136 :: v_dual_fmac_f32 v91, 0x3e9e377a, v29
	v_fmac_f32_e32 v18, 0xbf167918, v31
	s_delay_alu instid0(VALU_DEP_3) | instskip(NEXT) | instid1(VALU_DEP_4)
	v_dual_sub_f32 v22, v182, v22 :: v_dual_fmac_f32 v163, 0x3e9e377a, v28
	v_add_f32_e32 v28, v30, v136
	s_delay_alu instid0(VALU_DEP_4) | instskip(SKIP_4) | instid1(VALU_DEP_4)
	v_fma_f32 v31, -0.5, v86, v19
	v_add_f32_e32 v30, v13, v179
	v_fmac_f32_e32 v18, 0x3e9e377a, v29
	v_sub_f32_e32 v86, v8, v133
	v_dual_add_f32 v87, v28, v179 :: v_dual_sub_f32 v28, v1, v0
	v_dual_fmac_f32 v19, -0.5, v30 :: v_dual_sub_f32 v30, v13, v9
	s_delay_alu instid0(VALU_DEP_3) | instskip(SKIP_1) | instid1(VALU_DEP_3)
	v_dual_fmamk_f32 v29, v86, 0xbf737871, v31 :: v_dual_sub_f32 v90, v179, v136
	v_fmac_f32_e32 v31, 0x3f737871, v86
	v_fmamk_f32 v135, v28, 0x3f737871, v19
	v_sub_f32_e32 v177, v9, v13
	s_delay_alu instid0(VALU_DEP_4) | instskip(NEXT) | instid1(VALU_DEP_4)
	v_dual_fmac_f32 v29, 0xbf167918, v28 :: v_dual_add_f32 v30, v30, v90
	v_dual_fmac_f32 v31, 0x3f167918, v28 :: v_dual_sub_f32 v180, v136, v179
	v_fmac_f32_e32 v19, 0xbf737871, v28
	s_delay_alu instid0(VALU_DEP_3) | instskip(NEXT) | instid1(VALU_DEP_3)
	v_dual_add_f32 v28, v1, v0 :: v_dual_fmac_f32 v29, 0x3e9e377a, v30
	v_dual_fmac_f32 v31, 0x3e9e377a, v30 :: v_dual_add_f32 v30, v8, v133
	s_delay_alu instid0(VALU_DEP_4) | instskip(NEXT) | instid1(VALU_DEP_4)
	v_dual_fmac_f32 v135, 0xbf167918, v86 :: v_dual_add_f32 v90, v177, v180
	v_fmac_f32_e32 v19, 0x3f167918, v86
	s_delay_alu instid0(VALU_DEP_4) | instskip(SKIP_4) | instid1(VALU_DEP_4)
	v_fma_f32 v86, -0.5, v28, v12
	v_dual_sub_f32 v13, v13, v179 :: v_dual_add_f32 v28, v12, v8
	v_dual_sub_f32 v9, v9, v136 :: v_dual_fmac_f32 v12, -0.5, v30
	v_fmac_f32_e32 v135, 0x3e9e377a, v90
	v_fmac_f32_e32 v19, 0x3e9e377a, v90
	v_fmamk_f32 v90, v13, 0x3f737871, v86
	v_sub_f32_e32 v30, v8, v1
	v_sub_f32_e32 v136, v133, v0
	v_fmac_f32_e32 v86, 0xbf737871, v13
	v_fmamk_f32 v177, v9, 0xbf737871, v12
	v_dual_sub_f32 v8, v1, v8 :: v_dual_sub_f32 v179, v0, v133
	v_fmac_f32_e32 v12, 0x3f737871, v9
	v_fmac_f32_e32 v90, 0x3f167918, v9
	v_dual_add_f32 v30, v30, v136 :: v_dual_add_f32 v1, v28, v1
	v_fmac_f32_e32 v86, 0xbf167918, v9
	v_dual_fmac_f32 v177, 0x3f167918, v13 :: v_dual_add_f32 v8, v8, v179
	v_fmac_f32_e32 v12, 0xbf167918, v13
	s_delay_alu instid0(VALU_DEP_4) | instskip(SKIP_1) | instid1(VALU_DEP_4)
	v_fmac_f32_e32 v90, 0x3e9e377a, v30
	v_add_f32_e32 v0, v1, v0
	v_dual_fmac_f32 v86, 0x3e9e377a, v30 :: v_dual_fmac_f32 v177, 0x3e9e377a, v8
	s_delay_alu instid0(VALU_DEP_4) | instskip(NEXT) | instid1(VALU_DEP_3)
	v_fmac_f32_e32 v12, 0x3e9e377a, v8
	v_dual_mul_f32 v136, 0xbf167918, v90 :: v_dual_add_f32 v181, v0, v133
	s_delay_alu instid0(VALU_DEP_3)
	v_mul_f32_e32 v133, 0xbf167918, v86
	v_mul_f32_e32 v182, 0x3f4f1bbd, v90
	;; [unrolled: 1-line block ×3, first 2 shown]
	v_dual_mul_f32 v179, 0xbf737871, v177 :: v_dual_mul_f32 v180, 0xbf737871, v12
	v_mul_f32_e32 v177, 0x3e9e377a, v177
	v_mul_f32_e32 v183, 0xbe9e377a, v12
	v_fmac_f32_e32 v136, 0x3f4f1bbd, v29
	v_fmac_f32_e32 v133, 0xbf4f1bbd, v31
	v_fmac_f32_e32 v182, 0x3f167918, v29
	v_fmac_f32_e32 v184, 0x3f167918, v31
	v_fmac_f32_e32 v179, 0x3e9e377a, v135
	v_fmac_f32_e32 v180, 0xbe9e377a, v19
	v_fmac_f32_e32 v177, 0x3f737871, v135
	v_fmac_f32_e32 v183, 0x3f737871, v19
	v_add_f32_e32 v0, v84, v87
	v_add_f32_e32 v8, v85, v136
	;; [unrolled: 1-line block ×5, first 2 shown]
	v_dual_add_f32 v13, v163, v184 :: v_dual_add_f32 v28, v88, v179
	v_dual_add_f32 v30, v162, v180 :: v_dual_add_f32 v29, v91, v177
	v_sub_f32_e32 v84, v84, v87
	v_sub_f32_e32 v86, v85, v136
	;; [unrolled: 1-line block ×3, first 2 shown]
	v_dual_sub_f32 v90, v162, v180 :: v_dual_sub_f32 v133, v89, v133
	v_sub_f32_e32 v85, v178, v181
	v_sub_f32_e32 v87, v134, v182
	v_add_f32_e32 v31, v18, v183
	v_sub_f32_e32 v89, v91, v177
	v_dual_sub_f32 v91, v18, v183 :: v_dual_sub_f32 v134, v163, v184
	ds_store_2addr_b64 v164, v[2:3], v[4:5] offset1:10
	ds_store_2addr_b64 v164, v[6:7], v[10:11] offset0:20 offset1:30
	ds_store_2addr_b64 v164, v[14:15], v[20:21] offset0:40 offset1:50
	;; [unrolled: 1-line block ×4, first 2 shown]
	ds_store_2addr_b64 v165, v[0:1], v[8:9] offset1:10
	ds_store_2addr_b64 v165, v[28:29], v[30:31] offset0:20 offset1:30
	ds_store_2addr_b64 v165, v[12:13], v[84:85] offset0:40 offset1:50
	ds_store_2addr_b64 v165, v[86:87], v[88:89] offset0:60 offset1:70
	ds_store_2addr_b64 v165, v[90:91], v[133:134] offset0:80 offset1:90
	s_waitcnt lgkmcnt(0)
	s_barrier
	buffer_gl0_inv
	ds_load_2addr_b64 v[4:7], v161 offset0:16 offset1:216
	ds_load_2addr_b64 v[8:11], v157 offset0:32 offset1:232
	ds_load_2addr_b64 v[12:15], v160 offset0:48 offset1:248
	ds_load_2addr_b64 v[16:19], v156 offset1:200
	ds_load_2addr_b64 v[0:3], v152 offset1:200
	ds_load_2addr_b64 v[20:23], v159 offset0:16 offset1:216
	ds_load_2addr_b64 v[24:27], v154 offset0:32 offset1:232
	;; [unrolled: 1-line block ×3, first 2 shown]
	ds_load_2addr_b64 v[84:87], v153 offset1:200
	ds_load_2addr_b64 v[88:91], v155 offset0:16 offset1:216
	s_waitcnt lgkmcnt(0)
	s_barrier
	buffer_gl0_inv
	v_mul_f32_e32 v133, v61, v5
	v_mul_f32_e32 v61, v61, v4
	s_delay_alu instid0(VALU_DEP_2) | instskip(NEXT) | instid1(VALU_DEP_2)
	v_fmac_f32_e32 v133, v60, v4
	v_fma_f32 v60, v60, v5, -v61
	v_mul_f32_e32 v61, v63, v9
	v_dual_mul_f32 v4, v63, v8 :: v_dual_mul_f32 v63, v57, v13
	v_mul_f32_e32 v5, v57, v12
	v_mul_f32_e32 v57, v59, v17
	s_delay_alu instid0(VALU_DEP_4)
	v_fmac_f32_e32 v61, v62, v8
	v_mul_f32_e32 v8, v55, v24
	v_fmac_f32_e32 v63, v56, v12
	v_fma_f32 v12, v56, v13, -v5
	v_mul_f32_e32 v13, v53, v21
	v_mul_f32_e32 v5, v53, v20
	v_fma_f32 v62, v62, v9, -v4
	v_fmac_f32_e32 v57, v58, v16
	v_mul_f32_e32 v4, v59, v16
	v_dual_mul_f32 v16, v55, v25 :: v_dual_fmac_f32 v13, v52, v20
	v_fma_f32 v20, v52, v21, -v5
	v_fma_f32 v21, v54, v25, -v8
	v_mul_f32_e32 v25, v51, v85
	v_fma_f32 v17, v58, v17, -v4
	v_mul_f32_e32 v4, v49, v28
	v_dual_mul_f32 v5, v51, v84 :: v_dual_mul_f32 v8, v45, v6
	s_delay_alu instid0(VALU_DEP_4) | instskip(SKIP_3) | instid1(VALU_DEP_2)
	v_fmac_f32_e32 v25, v50, v84
	v_fmac_f32_e32 v16, v54, v24
	v_dual_mul_f32 v24, v49, v29 :: v_dual_mul_f32 v9, v47, v10
	v_mul_f32_e32 v49, v140, v89
	v_fmac_f32_e32 v24, v48, v28
	v_fma_f32 v28, v48, v29, -v4
	v_fma_f32 v29, v50, v85, -v5
	v_dual_mul_f32 v5, v140, v88 :: v_dual_mul_f32 v4, v45, v7
	v_mul_f32_e32 v45, v47, v11
	v_fmac_f32_e32 v49, v139, v88
	s_delay_alu instid0(VALU_DEP_3) | instskip(NEXT) | instid1(VALU_DEP_4)
	v_fma_f32 v47, v139, v89, -v5
	v_fmac_f32_e32 v4, v44, v6
	v_fma_f32 v5, v44, v7, -v8
	v_fma_f32 v44, v46, v11, -v9
	v_mul_f32_e32 v6, v41, v15
	v_mul_f32_e32 v7, v41, v14
	;; [unrolled: 1-line block ×4, first 2 shown]
	v_dual_fmac_f32 v45, v46, v10 :: v_dual_mul_f32 v10, v37, v23
	v_fmac_f32_e32 v6, v40, v14
	v_fma_f32 v7, v40, v15, -v7
	v_fma_f32 v40, v42, v19, -v8
	v_dual_mul_f32 v8, v37, v22 :: v_dual_mul_f32 v37, v39, v27
	v_mul_f32_e32 v39, v33, v31
	v_mul_f32_e32 v14, v33, v30
	v_fma_f32 v33, v38, v27, -v11
	v_dual_add_f32 v11, v57, v16 :: v_dual_fmac_f32 v10, v36, v22
	v_fma_f32 v9, v36, v23, -v8
	v_fmac_f32_e32 v37, v38, v26
	v_fma_f32 v8, v32, v31, -v14
	v_dual_mul_f32 v14, v35, v86 :: v_dual_add_f32 v15, v0, v61
	v_fma_f32 v22, -0.5, v11, v0
	v_sub_f32_e32 v11, v62, v29
	v_dual_add_f32 v26, v61, v25 :: v_dual_mul_f32 v41, v43, v19
	v_dual_fmac_f32 v39, v32, v30 :: v_dual_mul_f32 v30, v35, v87
	v_fma_f32 v32, v34, v87, -v14
	v_add_f32_e32 v14, v15, v57
	v_fmamk_f32 v23, v11, 0xbf737871, v22
	v_sub_f32_e32 v15, v17, v21
	v_mul_f32_e32 v27, v138, v90
	v_fma_f32 v26, -0.5, v26, v0
	v_dual_fmac_f32 v22, 0x3f737871, v11 :: v_dual_fmac_f32 v41, v42, v18
	v_fmac_f32_e32 v30, v34, v86
	v_dual_sub_f32 v18, v61, v57 :: v_dual_fmac_f32 v23, 0xbf167918, v15
	v_fma_f32 v34, v137, v91, -v27
	v_fmamk_f32 v27, v15, 0x3f737871, v26
	v_fmac_f32_e32 v22, 0x3f167918, v15
	v_dual_fmac_f32 v26, 0xbf737871, v15 :: v_dual_sub_f32 v15, v61, v25
	v_sub_f32_e32 v19, v25, v16
	v_add_f32_e32 v14, v14, v16
	v_sub_f32_e32 v0, v57, v61
	v_add_f32_e32 v35, v1, v62
	v_add_f32_e32 v36, v17, v21
	;; [unrolled: 1-line block ×4, first 2 shown]
	v_dual_sub_f32 v14, v16, v25 :: v_dual_fmac_f32 v27, 0xbf167918, v11
	v_dual_sub_f32 v25, v29, v21 :: v_dual_fmac_f32 v26, 0x3f167918, v11
	s_delay_alu instid0(VALU_DEP_4) | instskip(NEXT) | instid1(VALU_DEP_3)
	v_fmac_f32_e32 v23, 0x3e9e377a, v18
	v_add_f32_e32 v0, v0, v14
	v_add_f32_e32 v14, v35, v17
	v_fma_f32 v35, -0.5, v36, v1
	v_fmac_f32_e32 v22, 0x3e9e377a, v18
	v_sub_f32_e32 v16, v57, v16
	v_sub_f32_e32 v18, v62, v17
	v_add_f32_e32 v11, v14, v21
	v_add_f32_e32 v14, v62, v29
	v_fmamk_f32 v36, v15, 0x3f737871, v35
	v_fmac_f32_e32 v35, 0xbf737871, v15
	s_delay_alu instid0(VALU_DEP_4) | instskip(NEXT) | instid1(VALU_DEP_4)
	v_dual_fmac_f32 v27, 0x3e9e377a, v0 :: v_dual_add_f32 v42, v11, v29
	v_fma_f32 v38, -0.5, v14, v1
	v_sub_f32_e32 v1, v17, v62
	v_sub_f32_e32 v11, v21, v29
	v_add_f32_e32 v14, v133, v63
	v_fmac_f32_e32 v26, 0x3e9e377a, v0
	v_dual_add_f32 v0, v18, v25 :: v_dual_sub_f32 v29, v28, v47
	v_fmac_f32_e32 v36, 0x3f167918, v16
	v_fmamk_f32 v43, v16, 0xbf737871, v38
	v_fmac_f32_e32 v35, 0xbf167918, v16
	v_dual_add_f32 v1, v1, v11 :: v_dual_fmac_f32 v38, 0x3f737871, v16
	v_dual_add_f32 v11, v14, v13 :: v_dual_add_f32 v14, v13, v24
	v_fmac_f32_e32 v36, 0x3e9e377a, v0
	v_fmac_f32_e32 v43, 0x3f167918, v15
	;; [unrolled: 1-line block ×4, first 2 shown]
	v_add_f32_e32 v0, v11, v24
	v_fma_f32 v14, -0.5, v14, v133
	v_add_f32_e32 v11, v63, v49
	v_sub_f32_e32 v15, v12, v47
	v_fmac_f32_e32 v43, 0x3e9e377a, v1
	v_fmac_f32_e32 v38, 0x3e9e377a, v1
	v_add_f32_e32 v21, v0, v49
	v_dual_sub_f32 v0, v20, v28 :: v_dual_fmac_f32 v133, -0.5, v11
	v_fmamk_f32 v1, v15, 0xbf737871, v14
	v_dual_sub_f32 v11, v63, v13 :: v_dual_sub_f32 v16, v49, v24
	v_fmac_f32_e32 v14, 0x3f737871, v15
	s_delay_alu instid0(VALU_DEP_4) | instskip(NEXT) | instid1(VALU_DEP_4)
	v_fmamk_f32 v18, v0, 0x3f737871, v133
	v_fmac_f32_e32 v1, 0xbf167918, v0
	v_sub_f32_e32 v17, v13, v63
	v_add_f32_e32 v11, v11, v16
	v_dual_fmac_f32 v14, 0x3f167918, v0 :: v_dual_sub_f32 v25, v24, v49
	v_fmac_f32_e32 v133, 0xbf737871, v0
	s_delay_alu instid0(VALU_DEP_3) | instskip(NEXT) | instid1(VALU_DEP_3)
	v_dual_add_f32 v0, v20, v28 :: v_dual_fmac_f32 v1, 0x3e9e377a, v11
	v_fmac_f32_e32 v14, 0x3e9e377a, v11
	v_add_f32_e32 v11, v12, v47
	v_fmac_f32_e32 v18, 0xbf167918, v15
	v_dual_add_f32 v16, v17, v25 :: v_dual_fmac_f32 v133, 0x3f167918, v15
	v_fma_f32 v17, -0.5, v0, v60
	v_add_f32_e32 v15, v60, v12
	v_dual_sub_f32 v13, v13, v24 :: v_dual_fmac_f32 v60, -0.5, v11
	v_dual_sub_f32 v0, v63, v49 :: v_dual_sub_f32 v11, v12, v20
	v_sub_f32_e32 v12, v20, v12
	v_sub_f32_e32 v51, v44, v32
	s_delay_alu instid0(VALU_DEP_4) | instskip(SKIP_3) | instid1(VALU_DEP_4)
	v_fmamk_f32 v25, v13, 0xbf737871, v60
	v_fmac_f32_e32 v60, 0x3f737871, v13
	v_sub_f32_e32 v24, v47, v28
	v_dual_add_f32 v12, v12, v29 :: v_dual_mul_f32 v31, v138, v91
	v_fmac_f32_e32 v25, 0x3f167918, v0
	s_delay_alu instid0(VALU_DEP_4) | instskip(NEXT) | instid1(VALU_DEP_4)
	v_fmac_f32_e32 v60, 0xbf167918, v0
	v_add_f32_e32 v11, v11, v24
	s_delay_alu instid0(VALU_DEP_4) | instskip(NEXT) | instid1(VALU_DEP_4)
	v_fmac_f32_e32 v31, v137, v90
	v_fmac_f32_e32 v25, 0x3e9e377a, v12
	s_delay_alu instid0(VALU_DEP_4) | instskip(NEXT) | instid1(VALU_DEP_2)
	v_fmac_f32_e32 v60, 0x3e9e377a, v12
	v_mul_f32_e32 v24, 0xbf737871, v25
	s_delay_alu instid0(VALU_DEP_2)
	v_mul_f32_e32 v49, 0xbe9e377a, v60
	v_fmac_f32_e32 v18, 0x3e9e377a, v16
	v_fmac_f32_e32 v133, 0x3e9e377a, v16
	v_fmamk_f32 v16, v0, 0x3f737871, v17
	v_fmac_f32_e32 v17, 0xbf737871, v0
	v_add_f32_e32 v0, v15, v20
	v_fmac_f32_e32 v24, 0x3e9e377a, v18
	v_mul_f32_e32 v48, 0x3e9e377a, v25
	v_fmac_f32_e32 v16, 0x3f167918, v13
	s_delay_alu instid0(VALU_DEP_4) | instskip(SKIP_1) | instid1(VALU_DEP_3)
	v_dual_fmac_f32 v17, 0xbf167918, v13 :: v_dual_add_f32 v0, v0, v28
	v_mul_f32_e32 v28, 0xbf737871, v60
	v_dual_add_f32 v13, v27, v24 :: v_dual_fmac_f32 v16, 0x3e9e377a, v11
	s_delay_alu instid0(VALU_DEP_3) | instskip(NEXT) | instid1(VALU_DEP_4)
	v_fmac_f32_e32 v17, 0x3e9e377a, v11
	v_dual_add_f32 v29, v0, v47 :: v_dual_add_f32 v0, v19, v21
	s_delay_alu instid0(VALU_DEP_3) | instskip(NEXT) | instid1(VALU_DEP_3)
	v_dual_sub_f32 v19, v19, v21 :: v_dual_mul_f32 v20, 0xbf167918, v16
	v_mul_f32_e32 v46, 0xbf167918, v17
	v_mul_f32_e32 v47, 0x3f4f1bbd, v16
	v_fmac_f32_e32 v28, 0xbe9e377a, v133
	v_mul_f32_e32 v50, 0xbf4f1bbd, v17
	v_fmac_f32_e32 v20, 0x3f4f1bbd, v1
	v_fmac_f32_e32 v49, 0x3f737871, v133
	;; [unrolled: 1-line block ×3, first 2 shown]
	v_add_f32_e32 v1, v42, v29
	v_add_f32_e32 v15, v26, v28
	v_add_f32_e32 v11, v23, v20
	v_dual_sub_f32 v21, v23, v20 :: v_dual_add_f32 v20, v41, v37
	v_dual_sub_f32 v23, v27, v24 :: v_dual_fmac_f32 v46, 0xbf4f1bbd, v14
	v_dual_fmac_f32 v50, 0x3f167918, v14 :: v_dual_sub_f32 v25, v26, v28
	v_add_f32_e32 v26, v2, v45
	v_add_f32_e32 v16, v38, v49
	s_delay_alu instid0(VALU_DEP_4)
	v_add_f32_e32 v17, v22, v46
	v_sub_f32_e32 v27, v22, v46
	v_fma_f32 v46, -0.5, v20, v2
	v_sub_f32_e32 v20, v42, v29
	v_dual_sub_f32 v29, v40, v33 :: v_dual_fmac_f32 v48, 0x3f737871, v18
	v_add_f32_e32 v12, v36, v47
	v_sub_f32_e32 v22, v36, v47
	v_sub_f32_e32 v42, v45, v41
	s_delay_alu instid0(VALU_DEP_4) | instskip(SKIP_3) | instid1(VALU_DEP_4)
	v_dual_add_f32 v47, v45, v30 :: v_dual_add_f32 v14, v43, v48
	v_dual_sub_f32 v24, v43, v48 :: v_dual_sub_f32 v43, v30, v37
	v_add_f32_e32 v28, v26, v41
	v_sub_f32_e32 v26, v38, v49
	v_fma_f32 v2, -0.5, v47, v2
	s_delay_alu instid0(VALU_DEP_4) | instskip(SKIP_4) | instid1(VALU_DEP_4)
	v_dual_sub_f32 v47, v37, v30 :: v_dual_add_f32 v42, v42, v43
	v_sub_f32_e32 v43, v41, v45
	v_dual_add_f32 v49, v40, v33 :: v_dual_fmamk_f32 v36, v51, 0xbf737871, v46
	v_fmac_f32_e32 v46, 0x3f737871, v51
	v_add_f32_e32 v48, v3, v44
	v_add_f32_e32 v43, v43, v47
	s_delay_alu instid0(VALU_DEP_4) | instskip(SKIP_4) | instid1(VALU_DEP_4)
	v_fma_f32 v47, -0.5, v49, v3
	v_dual_sub_f32 v49, v39, v31 :: v_dual_add_f32 v38, v28, v37
	v_add_f32_e32 v18, v35, v50
	v_fmac_f32_e32 v36, 0xbf167918, v29
	v_sub_f32_e32 v28, v35, v50
	v_dual_fmac_f32 v46, 0x3f167918, v29 :: v_dual_add_f32 v35, v38, v30
	v_fmamk_f32 v38, v29, 0x3f737871, v2
	v_dual_fmac_f32 v2, 0xbf737871, v29 :: v_dual_add_f32 v29, v48, v40
	v_sub_f32_e32 v30, v45, v30
	v_fmac_f32_e32 v36, 0x3e9e377a, v42
	s_delay_alu instid0(VALU_DEP_4) | instskip(NEXT) | instid1(VALU_DEP_4)
	v_fmac_f32_e32 v38, 0xbf167918, v51
	v_dual_fmac_f32 v2, 0x3f167918, v51 :: v_dual_add_f32 v29, v29, v33
	v_dual_fmac_f32 v46, 0x3e9e377a, v42 :: v_dual_add_f32 v45, v44, v32
	s_delay_alu instid0(VALU_DEP_3)
	v_dual_fmac_f32 v38, 0x3e9e377a, v43 :: v_dual_sub_f32 v37, v41, v37
	v_sub_f32_e32 v41, v44, v40
	v_sub_f32_e32 v48, v32, v33
	v_dual_fmac_f32 v2, 0x3e9e377a, v43 :: v_dual_add_f32 v43, v29, v32
	v_fmamk_f32 v42, v30, 0x3f737871, v47
	v_dual_fmac_f32 v47, 0xbf737871, v30 :: v_dual_sub_f32 v32, v33, v32
	v_add_f32_e32 v33, v4, v6
	v_fmac_f32_e32 v3, -0.5, v45
	s_delay_alu instid0(VALU_DEP_4) | instskip(NEXT) | instid1(VALU_DEP_4)
	v_dual_fmac_f32 v42, 0x3f167918, v37 :: v_dual_add_f32 v29, v41, v48
	v_fmac_f32_e32 v47, 0xbf167918, v37
	s_delay_alu instid0(VALU_DEP_4) | instskip(NEXT) | instid1(VALU_DEP_4)
	v_add_f32_e32 v33, v33, v10
	v_fmamk_f32 v41, v37, 0xbf737871, v3
	v_fmac_f32_e32 v3, 0x3f737871, v37
	v_dual_fmac_f32 v42, 0x3e9e377a, v29 :: v_dual_add_f32 v37, v10, v39
	v_fmac_f32_e32 v47, 0x3e9e377a, v29
	v_add_f32_e32 v29, v33, v39
	v_add_f32_e32 v33, v6, v31
	v_fmac_f32_e32 v41, 0x3f167918, v30
	v_fmac_f32_e32 v3, 0xbf167918, v30
	v_fma_f32 v30, -0.5, v37, v4
	v_sub_f32_e32 v48, v10, v6
	v_dual_fmac_f32 v4, -0.5, v33 :: v_dual_sub_f32 v33, v6, v10
	v_sub_f32_e32 v6, v6, v31
	v_dual_sub_f32 v40, v40, v44 :: v_dual_sub_f32 v37, v7, v34
	v_sub_f32_e32 v44, v31, v39
	v_sub_f32_e32 v10, v10, v39
	;; [unrolled: 1-line block ×3, first 2 shown]
	s_delay_alu instid0(VALU_DEP_4)
	v_add_f32_e32 v32, v40, v32
	v_add_f32_e32 v40, v29, v31
	v_sub_f32_e32 v29, v9, v8
	v_add_f32_e32 v33, v33, v44
	v_sub_f32_e32 v31, v7, v9
	v_fmac_f32_e32 v41, 0x3e9e377a, v32
	v_fmac_f32_e32 v3, 0x3e9e377a, v32
	v_fmamk_f32 v32, v37, 0xbf737871, v30
	v_fmac_f32_e32 v30, 0x3f737871, v37
	v_fmamk_f32 v45, v29, 0x3f737871, v4
	v_dual_fmac_f32 v4, 0xbf737871, v29 :: v_dual_add_f32 v31, v31, v39
	s_delay_alu instid0(VALU_DEP_4) | instskip(NEXT) | instid1(VALU_DEP_4)
	v_fmac_f32_e32 v32, 0xbf167918, v29
	v_dual_fmac_f32 v30, 0x3f167918, v29 :: v_dual_add_f32 v29, v9, v8
	s_delay_alu instid0(VALU_DEP_4) | instskip(NEXT) | instid1(VALU_DEP_4)
	v_fmac_f32_e32 v45, 0xbf167918, v37
	v_fmac_f32_e32 v4, 0x3f167918, v37
	s_delay_alu instid0(VALU_DEP_4) | instskip(NEXT) | instid1(VALU_DEP_4)
	v_fmac_f32_e32 v32, 0x3e9e377a, v33
	v_dual_fmac_f32 v30, 0x3e9e377a, v33 :: v_dual_add_f32 v33, v7, v34
	v_fma_f32 v37, -0.5, v29, v5
	v_add_f32_e32 v29, v5, v7
	v_sub_f32_e32 v7, v9, v7
	s_delay_alu instid0(VALU_DEP_4) | instskip(NEXT) | instid1(VALU_DEP_4)
	v_fmac_f32_e32 v5, -0.5, v33
	v_fmamk_f32 v33, v6, 0x3f737871, v37
	v_fmac_f32_e32 v37, 0xbf737871, v6
	s_delay_alu instid0(VALU_DEP_2) | instskip(NEXT) | instid1(VALU_DEP_2)
	v_fmac_f32_e32 v33, 0x3f167918, v10
	v_fmac_f32_e32 v37, 0xbf167918, v10
	s_delay_alu instid0(VALU_DEP_2) | instskip(NEXT) | instid1(VALU_DEP_2)
	v_fmac_f32_e32 v33, 0x3e9e377a, v31
	v_fmac_f32_e32 v37, 0x3e9e377a, v31
	s_delay_alu instid0(VALU_DEP_2) | instskip(NEXT) | instid1(VALU_DEP_2)
	v_mul_f32_e32 v51, 0x3f4f1bbd, v33
	v_mul_f32_e32 v53, 0xbf4f1bbd, v37
	;; [unrolled: 1-line block ×3, first 2 shown]
	s_delay_alu instid0(VALU_DEP_3) | instskip(NEXT) | instid1(VALU_DEP_3)
	v_dual_fmac_f32 v51, 0x3f167918, v32 :: v_dual_add_f32 v44, v48, v49
	v_fmac_f32_e32 v53, 0x3f167918, v30
	v_sub_f32_e32 v48, v8, v34
	s_delay_alu instid0(VALU_DEP_4) | instskip(NEXT) | instid1(VALU_DEP_4)
	v_fmac_f32_e32 v50, 0xbf4f1bbd, v30
	v_fmac_f32_e32 v45, 0x3e9e377a, v44
	v_fmac_f32_e32 v4, 0x3e9e377a, v44
	v_fmamk_f32 v44, v10, 0xbf737871, v5
	v_fmac_f32_e32 v5, 0x3f737871, v10
	v_dual_add_f32 v7, v7, v48 :: v_dual_mul_f32 v10, 0xbf167918, v33
	s_delay_alu instid0(VALU_DEP_3) | instskip(NEXT) | instid1(VALU_DEP_3)
	v_fmac_f32_e32 v44, 0x3f167918, v6
	v_dual_fmac_f32 v5, 0xbf167918, v6 :: v_dual_add_f32 v6, v29, v9
	s_delay_alu instid0(VALU_DEP_3) | instskip(NEXT) | instid1(VALU_DEP_3)
	v_dual_fmac_f32 v10, 0x3f4f1bbd, v32 :: v_dual_add_f32 v9, v42, v51
	v_fmac_f32_e32 v44, 0x3e9e377a, v7
	s_delay_alu instid0(VALU_DEP_3) | instskip(NEXT) | instid1(VALU_DEP_3)
	v_dual_fmac_f32 v5, 0x3e9e377a, v7 :: v_dual_add_f32 v6, v6, v8
	v_add_f32_e32 v8, v36, v10
	v_add_f32_e32 v33, v46, v50
	s_delay_alu instid0(VALU_DEP_3) | instskip(SKIP_2) | instid1(VALU_DEP_3)
	v_dual_mul_f32 v39, 0xbf737871, v44 :: v_dual_mul_f32 v48, 0xbf737871, v5
	v_mul_f32_e32 v44, 0x3e9e377a, v44
	v_dual_mul_f32 v52, 0xbe9e377a, v5 :: v_dual_add_f32 v49, v6, v34
	v_fmac_f32_e32 v39, 0x3e9e377a, v45
	s_delay_alu instid0(VALU_DEP_4) | instskip(NEXT) | instid1(VALU_DEP_4)
	v_fmac_f32_e32 v48, 0xbe9e377a, v4
	v_fmac_f32_e32 v44, 0x3f737871, v45
	s_delay_alu instid0(VALU_DEP_4) | instskip(NEXT) | instid1(VALU_DEP_4)
	v_fmac_f32_e32 v52, 0x3f737871, v4
	v_dual_add_f32 v6, v35, v40 :: v_dual_add_f32 v29, v38, v39
	s_delay_alu instid0(VALU_DEP_4) | instskip(NEXT) | instid1(VALU_DEP_4)
	v_add_f32_e32 v31, v2, v48
	v_dual_add_f32 v7, v43, v49 :: v_dual_add_f32 v30, v41, v44
	s_delay_alu instid0(VALU_DEP_4)
	v_add_f32_e32 v32, v3, v52
	v_sub_f32_e32 v4, v35, v40
	v_dual_sub_f32 v2, v2, v48 :: v_dual_sub_f32 v5, v43, v49
	v_sub_f32_e32 v3, v3, v52
	v_dual_add_f32 v34, v47, v53 :: v_dual_sub_f32 v35, v36, v10
	v_sub_f32_e32 v37, v38, v39
	v_sub_f32_e32 v39, v46, v50
	;; [unrolled: 1-line block ×5, first 2 shown]
	ds_store_2addr_b64 v166, v[0:1], v[11:12] offset1:100
	ds_store_2addr_b64 v175, v[13:14], v[15:16] offset0:72 offset1:172
	ds_store_2addr_b64 v173, v[17:18], v[19:20] offset0:144 offset1:244
	;; [unrolled: 1-line block ×4, first 2 shown]
	ds_store_2addr_b64 v167, v[6:7], v[8:9] offset1:100
	ds_store_2addr_b64 v170, v[29:30], v[31:32] offset0:72 offset1:172
	ds_store_2addr_b64 v171, v[33:34], v[4:5] offset0:144 offset1:244
	;; [unrolled: 1-line block ×4, first 2 shown]
	s_waitcnt lgkmcnt(0)
	s_barrier
	buffer_gl0_inv
	ds_load_2addr_b64 v[0:3], v157 offset0:32 offset1:232
	ds_load_2addr_b64 v[4:7], v159 offset0:16 offset1:216
	;; [unrolled: 1-line block ×4, first 2 shown]
	ds_load_2addr_b64 v[16:19], v152 offset1:200
	ds_load_2addr_b64 v[20:23], v153 offset1:200
	ds_load_2addr_b64 v[24:27], v161 offset0:16 offset1:216
	ds_load_2addr_b64 v[28:31], v154 offset0:32 offset1:232
	ds_load_2addr_b64 v[32:35], v156 offset1:200
	ds_load_2addr_b64 v[36:39], v155 offset0:16 offset1:216
	s_waitcnt lgkmcnt(9)
	v_mul_f32_e32 v40, v77, v3
	s_waitcnt lgkmcnt(8)
	v_dual_mul_f32 v41, v77, v2 :: v_dual_mul_f32 v42, v79, v5
	s_waitcnt lgkmcnt(6)
	v_mul_f32_e32 v43, v69, v13
	v_mul_f32_e32 v44, v69, v12
	v_fmac_f32_e32 v40, v76, v2
	v_fma_f32 v2, v76, v3, -v41
	v_mul_f32_e32 v3, v79, v4
	v_mul_f32_e32 v41, v150, v10
	v_fmac_f32_e32 v42, v78, v4
	v_dual_mul_f32 v4, v150, v11 :: v_dual_fmac_f32 v43, v68, v12
	s_delay_alu instid0(VALU_DEP_4) | instskip(NEXT) | instid1(VALU_DEP_4)
	v_fma_f32 v3, v78, v5, -v3
	v_fma_f32 v5, v149, v11, -v41
	v_mul_f32_e32 v11, v71, v7
	s_waitcnt lgkmcnt(4)
	v_dual_mul_f32 v12, v71, v6 :: v_dual_mul_f32 v41, v146, v20
	v_fmac_f32_e32 v4, v149, v10
	v_fma_f32 v10, v68, v13, -v44
	v_mul_f32_e32 v13, v146, v21
	v_fmac_f32_e32 v11, v70, v6
	v_fma_f32 v6, v70, v7, -v12
	v_fma_f32 v7, v145, v21, -v41
	v_dual_mul_f32 v12, v65, v14 :: v_dual_mul_f32 v21, v142, v23
	v_mul_f32_e32 v41, v142, v22
	v_fmac_f32_e32 v13, v145, v20
	s_waitcnt lgkmcnt(2)
	v_mul_f32_e32 v20, v67, v28
	v_fma_f32 v45, v64, v15, -v12
	v_fmac_f32_e32 v21, v141, v22
	s_waitcnt lgkmcnt(1)
	v_mul_f32_e32 v22, v81, v33
	v_dual_mul_f32 v12, v81, v32 :: v_dual_sub_f32 v5, v2, v5
	s_delay_alu instid0(VALU_DEP_2) | instskip(NEXT) | instid1(VALU_DEP_2)
	v_fmac_f32_e32 v22, v80, v32
	v_fma_f32 v32, v80, v33, -v12
	s_waitcnt lgkmcnt(0)
	v_dual_mul_f32 v33, v75, v9 :: v_dual_mul_f32 v12, v148, v36
	s_delay_alu instid0(VALU_DEP_1) | instskip(SKIP_3) | instid1(VALU_DEP_4)
	v_dual_fmac_f32 v33, v74, v8 :: v_dual_mul_f32 v44, v65, v15
	v_fma_f32 v15, v66, v29, -v20
	v_fma_f32 v20, v141, v23, -v41
	v_mul_f32_e32 v23, v83, v31
	v_dual_sub_f32 v41, v10, v7 :: v_dual_fmac_f32 v44, v64, v14
	v_mul_f32_e32 v14, v67, v29
	v_mul_f32_e32 v29, v148, v37
	s_delay_alu instid0(VALU_DEP_4)
	v_fmac_f32_e32 v23, v82, v30
	v_fma_f32 v37, v147, v37, -v12
	v_sub_f32_e32 v12, v16, v42
	v_fmac_f32_e32 v14, v66, v28
	v_mul_f32_e32 v28, v83, v30
	v_dual_fmac_f32 v29, v147, v36 :: v_dual_mul_f32 v30, v73, v34
	v_mul_f32_e32 v36, v75, v8
	v_sub_f32_e32 v8, v40, v4
	s_delay_alu instid0(VALU_DEP_4) | instskip(SKIP_3) | instid1(VALU_DEP_3)
	v_fma_f32 v28, v82, v31, -v28
	v_dual_mul_f32 v31, v73, v35 :: v_dual_mul_f32 v4, v144, v38
	v_fma_f32 v10, v10, 2.0, -v41
	v_dual_sub_f32 v21, v44, v21 :: v_dual_sub_f32 v42, v45, v20
	v_fmac_f32_e32 v31, v72, v34
	v_fma_f32 v34, v72, v35, -v30
	v_fma_f32 v30, v74, v9, -v36
	v_sub_f32_e32 v36, v17, v3
	v_mul_f32_e32 v35, v144, v39
	v_fma_f32 v9, v16, 2.0, -v12
	v_fma_f32 v3, v40, 2.0, -v8
	v_sub_f32_e32 v40, v43, v13
	v_fma_f32 v16, v17, 2.0, -v36
	v_sub_f32_e32 v17, v18, v11
	v_fmac_f32_e32 v35, v143, v38
	v_fma_f32 v38, v143, v39, -v4
	v_fma_f32 v4, v2, 2.0, -v5
	v_sub_f32_e32 v39, v19, v6
	v_fma_f32 v13, v18, 2.0, -v17
	v_fma_f32 v11, v43, 2.0, -v40
	v_dual_sub_f32 v7, v36, v8 :: v_dual_sub_f32 v2, v9, v3
	v_sub_f32_e32 v3, v16, v4
	v_fma_f32 v18, v19, 2.0, -v39
	s_delay_alu instid0(VALU_DEP_4) | instskip(NEXT) | instid1(VALU_DEP_4)
	v_sub_f32_e32 v8, v13, v11
	v_fma_f32 v11, v36, 2.0, -v7
	v_sub_f32_e32 v36, v24, v14
	v_add_f32_e32 v14, v17, v41
	v_sub_f32_e32 v41, v25, v15
	v_dual_sub_f32 v15, v39, v40 :: v_dual_sub_f32 v40, v22, v29
	v_add_f32_e32 v6, v12, v5
	v_fma_f32 v5, v16, 2.0, -v3
	v_fma_f32 v20, v24, 2.0, -v36
	;; [unrolled: 1-line block ×4, first 2 shown]
	v_sub_f32_e32 v39, v26, v23
	v_sub_f32_e32 v43, v27, v28
	v_fma_f32 v24, v22, 2.0, -v40
	v_dual_add_f32 v22, v36, v42 :: v_dual_sub_f32 v23, v41, v21
	v_fma_f32 v4, v9, 2.0, -v2
	v_sub_f32_e32 v9, v18, v10
	v_fma_f32 v25, v25, 2.0, -v41
	v_fma_f32 v19, v45, 2.0, -v42
	;; [unrolled: 1-line block ×3, first 2 shown]
	v_sub_f32_e32 v29, v32, v37
	v_fma_f32 v37, v27, 2.0, -v43
	v_fma_f32 v26, v36, 2.0, -v22
	v_fma_f32 v27, v41, 2.0, -v23
	v_dual_sub_f32 v41, v0, v33 :: v_dual_sub_f32 v42, v1, v30
	v_dual_sub_f32 v35, v31, v35 :: v_dual_sub_f32 v36, v34, v38
	v_fma_f32 v10, v12, 2.0, -v6
	v_fma_f32 v12, v13, 2.0, -v8
	;; [unrolled: 1-line block ×4, first 2 shown]
	v_sub_f32_e32 v19, v25, v19
	v_fma_f32 v32, v32, 2.0, -v29
	v_fma_f32 v38, v0, 2.0, -v41
	;; [unrolled: 1-line block ×5, first 2 shown]
	v_add_f32_e32 v30, v39, v29
	v_dual_sub_f32 v31, v43, v40 :: v_dual_sub_f32 v18, v20, v18
	v_sub_f32_e32 v24, v28, v24
	v_fma_f32 v21, v25, 2.0, -v19
	v_dual_sub_f32 v25, v37, v32 :: v_dual_sub_f32 v32, v38, v1
	v_dual_sub_f32 v33, v44, v33 :: v_dual_add_f32 v34, v41, v36
	v_sub_f32_e32 v35, v42, v35
	v_fma_f32 v0, v39, 2.0, -v30
	v_fma_f32 v1, v43, 2.0, -v31
	;; [unrolled: 1-line block ×9, first 2 shown]
	ds_store_b64 v152, v[10:11] offset:8000
	ds_store_b64 v152, v[2:3] offset:16000
	;; [unrolled: 1-line block ×3, first 2 shown]
	ds_store_2addr_b64 v152, v[4:5], v[12:13] offset1:200
	ds_store_b64 v152, v[8:9] offset:17600
	ds_store_b64 v152, v[14:15] offset:25600
	ds_store_2addr_b64 v160, v[16:17], v[26:27] offset0:48 offset1:248
	ds_store_2addr_b64 v161, v[20:21], v[28:29] offset0:16 offset1:216
	;; [unrolled: 1-line block ×4, first 2 shown]
	ds_store_2addr_b64 v156, v[0:1], v[38:39] offset1:200
	ds_store_b64 v152, v[36:37] offset:6400
	ds_store_b64 v152, v[32:33] offset:22400
	;; [unrolled: 1-line block ×3, first 2 shown]
	s_waitcnt lgkmcnt(0)
	s_barrier
	buffer_gl0_inv
	ds_load_2addr_b64 v[0:3], v152 offset1:200
	ds_load_2addr_b64 v[4:7], v161 offset0:16 offset1:216
	ds_load_2addr_b64 v[8:11], v157 offset0:32 offset1:232
	;; [unrolled: 1-line block ×3, first 2 shown]
	ds_load_2addr_b64 v[16:19], v156 offset1:200
	v_mad_u64_u32 v[40:41], null, s6, v92, 0
	v_mad_u64_u32 v[42:43], null, s4, v151, 0
	s_delay_alu instid0(VALU_DEP_1) | instskip(SKIP_1) | instid1(VALU_DEP_2)
	v_mad_u64_u32 v[44:45], null, s7, v92, v[41:42]
	s_waitcnt lgkmcnt(4)
	v_dual_mov_b32 v41, v43 :: v_dual_mul_f32 v20, v100, v1
	s_waitcnt lgkmcnt(3)
	v_mul_f32_e32 v25, v122, v4
	v_mul_f32_e32 v24, v122, v5
	s_waitcnt lgkmcnt(2)
	v_mul_f32_e32 v26, v132, v9
	s_waitcnt lgkmcnt(1)
	v_dual_mul_f32 v27, v124, v13 :: v_dual_fmac_f32 v20, v99, v0
	v_mul_f32_e32 v0, v100, v0
	v_fma_f32 v25, v121, v5, -v25
	v_fmac_f32_e32 v24, v121, v4
	v_fmac_f32_e32 v26, v131, v8
	v_cvt_f64_f32_e32 v[28:29], v20
	ds_load_2addr_b64 v[20:23], v159 offset0:16 offset1:216
	v_fma_f32 v0, v99, v1, -v0
	v_mul_f32_e32 v8, v132, v8
	v_cvt_f64_f32_e32 v[30:31], v25
	v_fmac_f32_e32 v27, v123, v12
	v_mul_f32_e32 v12, v124, v12
	s_waitcnt lgkmcnt(1)
	v_mul_f32_e32 v25, v126, v16
	v_cvt_f64_f32_e32 v[0:1], v0
	v_cvt_f64_f32_e32 v[4:5], v24
	v_fma_f32 v8, v131, v9, -v8
	v_mul_f32_e32 v24, v126, v17
	v_fma_f32 v12, v123, v13, -v12
	v_fma_f32 v25, v125, v17, -v25
	v_cvt_f64_f32_e32 v[34:35], v27
	v_cvt_f64_f32_e32 v[8:9], v8
	v_fmac_f32_e32 v24, v125, v16
	v_cvt_f64_f32_e32 v[12:13], v12
	v_cvt_f64_f32_e32 v[36:37], v25
	;; [unrolled: 1-line block ×3, first 2 shown]
	s_waitcnt lgkmcnt(0)
	v_mul_f32_e32 v27, v128, v20
	v_mul_f32_e32 v26, v128, v21
	v_cvt_f64_f32_e32 v[16:17], v24
	s_delay_alu instid0(VALU_DEP_3) | instskip(NEXT) | instid1(VALU_DEP_3)
	v_fma_f32 v24, v127, v21, -v27
	v_fmac_f32_e32 v26, v127, v20
	s_delay_alu instid0(VALU_DEP_2) | instskip(NEXT) | instid1(VALU_DEP_2)
	v_cvt_f64_f32_e32 v[38:39], v24
	v_cvt_f64_f32_e32 v[20:21], v26
	ds_load_2addr_b64 v[24:27], v154 offset0:32 offset1:232
	v_mul_f64 v[28:29], v[28:29], s[2:3]
	v_mul_f64 v[45:46], v[30:31], s[2:3]
	;; [unrolled: 1-line block ×6, first 2 shown]
	s_waitcnt lgkmcnt(0)
	v_mul_f32_e32 v30, v120, v25
	v_mul_f64 v[12:13], v[12:13], s[2:3]
	v_mul_f64 v[36:37], v[36:37], s[2:3]
	v_mul_f32_e32 v31, v120, v24
	v_mul_f64 v[47:48], v[32:33], s[2:3]
	v_fmac_f32_e32 v30, v119, v24
	ds_load_2addr_b64 v[32:35], v153 offset1:200
	v_mul_f64 v[16:17], v[16:17], s[2:3]
	v_fma_f32 v31, v119, v25, -v31
	v_mad_u64_u32 v[24:25], null, s5, v151, v[41:42]
	v_mov_b32_e32 v41, v44
	v_cvt_f64_f32_e32 v[51:52], v30
	s_delay_alu instid0(VALU_DEP_4)
	v_cvt_f64_f32_e32 v[53:54], v31
	v_mul_f64 v[38:39], v[38:39], s[2:3]
	v_mul_f64 v[20:21], v[20:21], s[2:3]
	v_mov_b32_e32 v43, v24
	v_lshlrev_b64 v[24:25], 3, v[40:41]
	v_cvt_f32_f64_e32 v40, v[28:29]
	ds_load_2addr_b64 v[28:31], v158 offset0:48 offset1:248
	v_add_co_u32 v24, vcc_lo, s0, v24
	v_add_co_ci_u32_e32 v25, vcc_lo, s1, v25, vcc_lo
	s_mul_i32 s0, s5, 0xc80
	s_mul_hi_u32 s1, s4, 0xc80
	v_cvt_f32_f64_e32 v41, v[0:1]
	v_lshlrev_b64 v[0:1], 3, v[42:43]
	v_cvt_f32_f64_e32 v4, v[4:5]
	v_cvt_f32_f64_e32 v5, v[45:46]
	s_add_i32 s0, s1, s0
	s_mul_i32 s1, s4, 0xc80
	s_delay_alu instid0(VALU_DEP_3)
	v_add_co_u32 v0, vcc_lo, v24, v0
	v_add_co_ci_u32_e32 v1, vcc_lo, v25, v1, vcc_lo
	v_cvt_f32_f64_e32 v25, v[8:9]
	v_cvt_f32_f64_e32 v9, v[12:13]
	;; [unrolled: 1-line block ×3, first 2 shown]
	s_waitcnt lgkmcnt(0)
	v_mul_f32_e32 v36, v130, v29
	v_cvt_f32_f64_e32 v12, v[16:17]
	v_mul_f32_e32 v37, v118, v33
	v_cvt_f32_f64_e32 v24, v[47:48]
	v_cvt_f32_f64_e32 v8, v[49:50]
	v_fmac_f32_e32 v36, v129, v28
	v_mul_f32_e32 v28, v130, v28
	v_fmac_f32_e32 v37, v117, v32
	v_mul_f64 v[42:43], v[53:54], s[2:3]
	v_cvt_f32_f64_e32 v17, v[38:39]
	v_mul_f32_e32 v38, v118, v32
	v_cvt_f64_f32_e32 v[44:45], v36
	v_fma_f32 v36, v129, v29, -v28
	v_cvt_f32_f64_e32 v16, v[20:21]
	v_cvt_f64_f32_e32 v[46:47], v37
	v_fma_f32 v38, v117, v33, -v38
	v_add_co_u32 v28, vcc_lo, v0, s1
	v_cvt_f64_f32_e32 v[32:33], v36
	v_add_co_ci_u32_e32 v29, vcc_lo, s0, v1, vcc_lo
	s_delay_alu instid0(VALU_DEP_4) | instskip(SKIP_4) | instid1(VALU_DEP_3)
	v_cvt_f64_f32_e32 v[48:49], v38
	ds_load_2addr_b64 v[36:39], v155 offset0:16 offset1:216
	v_add_co_u32 v50, vcc_lo, v28, s1
	v_mul_f64 v[20:21], v[51:52], s[2:3]
	v_add_co_ci_u32_e32 v51, vcc_lo, s0, v29, vcc_lo
	v_add_co_u32 v52, vcc_lo, v50, s1
	global_store_b64 v[0:1], v[40:41], off
	v_add_co_ci_u32_e32 v53, vcc_lo, s0, v51, vcc_lo
	v_add_co_u32 v54, vcc_lo, v52, s1
	v_mul_f32_e32 v40, v96, v11
	s_delay_alu instid0(VALU_DEP_3) | instskip(NEXT) | instid1(VALU_DEP_3)
	v_add_co_ci_u32_e32 v55, vcc_lo, s0, v53, vcc_lo
	v_add_co_u32 v0, vcc_lo, v54, s1
	s_delay_alu instid0(VALU_DEP_3) | instskip(NEXT) | instid1(VALU_DEP_3)
	v_fmac_f32_e32 v40, v95, v10
	v_add_co_ci_u32_e32 v1, vcc_lo, s0, v55, vcc_lo
	s_clause 0x3
	global_store_b64 v[28:29], v[4:5], off
	global_store_b64 v[50:51], v[24:25], off
	;; [unrolled: 1-line block ×5, first 2 shown]
	s_waitcnt lgkmcnt(0)
	v_mul_f32_e32 v55, v116, v38
	v_mul_f32_e32 v24, v108, v37
	;; [unrolled: 1-line block ×3, first 2 shown]
	v_mul_f64 v[8:9], v[44:45], s[2:3]
	v_mul_f64 v[16:17], v[46:47], s[2:3]
	v_cvt_f32_f64_e32 v5, v[42:43]
	v_fmac_f32_e32 v24, v107, v36
	v_fma_f32 v28, v107, v37, -v12
	v_mul_f64 v[12:13], v[32:33], s[2:3]
	v_mul_f32_e32 v32, v94, v3
	v_mul_f32_e32 v33, v94, v2
	v_cvt_f64_f32_e32 v[24:25], v24
	v_cvt_f64_f32_e32 v[28:29], v28
	v_mul_f32_e32 v36, v106, v7
	v_mul_f32_e32 v37, v106, v6
	v_fmac_f32_e32 v32, v93, v2
	v_fma_f32 v33, v93, v3, -v33
	v_mul_f32_e32 v10, v96, v10
	v_fmac_f32_e32 v36, v105, v6
	v_fma_f32 v37, v105, v7, -v37
	v_cvt_f64_f32_e32 v[2:3], v32
	v_cvt_f64_f32_e32 v[6:7], v33
	v_mul_f32_e32 v42, v104, v15
	v_cvt_f64_f32_e32 v[32:33], v36
	v_cvt_f64_f32_e32 v[36:37], v37
	v_dual_mul_f32 v43, v104, v14 :: v_dual_mul_f32 v44, v110, v19
	v_mul_f32_e32 v45, v110, v18
	v_mul_f32_e32 v50, v98, v31
	;; [unrolled: 1-line block ×4, first 2 shown]
	v_cvt_f32_f64_e32 v4, v[20:21]
	v_mul_f64 v[20:21], v[48:49], s[2:3]
	v_mul_f32_e32 v48, v114, v27
	v_mul_f32_e32 v49, v114, v26
	v_fma_f32 v10, v95, v11, -v10
	v_fmac_f32_e32 v42, v103, v14
	v_fma_f32 v43, v103, v15, -v43
	v_fmac_f32_e32 v44, v109, v18
	;; [unrolled: 2-line block ×3, first 2 shown]
	v_mul_f32_e32 v30, v98, v30
	v_mul_f32_e32 v52, v112, v35
	;; [unrolled: 1-line block ×4, first 2 shown]
	v_fmac_f32_e32 v46, v101, v22
	v_fma_f32 v47, v101, v23, -v47
	v_fmac_f32_e32 v48, v113, v26
	v_fma_f32 v49, v113, v27, -v49
	v_cvt_f64_f32_e32 v[40:41], v40
	v_cvt_f64_f32_e32 v[10:11], v10
	;; [unrolled: 1-line block ×6, first 2 shown]
	v_fma_f32 v30, v97, v31, -v30
	v_fmac_f32_e32 v52, v111, v34
	v_fma_f32 v53, v111, v35, -v53
	v_fmac_f32_e32 v54, v115, v38
	v_fma_f32 v55, v115, v39, -v55
	v_cvt_f64_f32_e32 v[22:23], v46
	v_cvt_f64_f32_e32 v[26:27], v47
	;; [unrolled: 1-line block ×10, first 2 shown]
	v_cvt_f32_f64_e32 v8, v[8:9]
	v_mul_f64 v[24:25], v[24:25], s[2:3]
	v_cvt_f32_f64_e32 v9, v[12:13]
	v_cvt_f32_f64_e32 v12, v[16:17]
	v_mul_f64 v[16:17], v[28:29], s[2:3]
	v_mul_f64 v[2:3], v[2:3], s[2:3]
	v_mul_f64 v[6:7], v[6:7], s[2:3]
	v_mul_f64 v[28:29], v[32:33], s[2:3]
	v_mul_f64 v[32:33], v[36:37], s[2:3]
	v_cvt_f32_f64_e32 v13, v[20:21]
	v_add_co_u32 v0, vcc_lo, v0, s1
	v_add_co_ci_u32_e32 v1, vcc_lo, s0, v1, vcc_lo
	s_delay_alu instid0(VALU_DEP_2)
	v_add_co_u32 v20, vcc_lo, v0, s1
	v_mul_f64 v[40:41], v[40:41], s[2:3]
	v_mul_f64 v[10:11], v[10:11], s[2:3]
	;; [unrolled: 1-line block ×6, first 2 shown]
	v_add_co_ci_u32_e32 v21, vcc_lo, s0, v1, vcc_lo
	v_add_co_u32 v36, vcc_lo, v20, s1
	global_store_b64 v[0:1], v[4:5], off
	v_mul_f64 v[22:23], v[22:23], s[2:3]
	v_mul_f64 v[26:27], v[26:27], s[2:3]
	;; [unrolled: 1-line block ×10, first 2 shown]
	v_add_co_ci_u32_e32 v37, vcc_lo, s0, v21, vcc_lo
	v_cvt_f32_f64_e32 v0, v[24:25]
	v_add_co_u32 v56, vcc_lo, v36, s1
	v_cvt_f32_f64_e32 v1, v[16:17]
	v_cvt_f32_f64_e32 v2, v[2:3]
	;; [unrolled: 1-line block ×3, first 2 shown]
	v_add_co_ci_u32_e32 v57, vcc_lo, s0, v37, vcc_lo
	v_cvt_f32_f64_e32 v6, v[28:29]
	v_cvt_f32_f64_e32 v7, v[32:33]
	s_mul_i32 s2, s5, 0xffff95c0
	s_delay_alu instid0(VALU_DEP_3)
	v_mad_u64_u32 v[4:5], null, 0xffff95c0, s4, v[56:57]
	s_sub_i32 s2, s2, s4
	global_store_b64 v[20:21], v[8:9], off
	global_store_b64 v[36:37], v[12:13], off
	v_cvt_f32_f64_e32 v12, v[40:41]
	v_cvt_f32_f64_e32 v13, v[10:11]
	;; [unrolled: 1-line block ×3, first 2 shown]
	v_add_nc_u32_e32 v5, s2, v5
	v_add_co_u32 v8, vcc_lo, v4, s1
	v_cvt_f32_f64_e32 v11, v[18:19]
	v_cvt_f32_f64_e32 v16, v[42:43]
	s_delay_alu instid0(VALU_DEP_4)
	v_add_co_ci_u32_e32 v9, vcc_lo, s0, v5, vcc_lo
	v_cvt_f32_f64_e32 v17, v[44:45]
	v_add_co_u32 v14, vcc_lo, v8, s1
	v_cvt_f32_f64_e32 v18, v[22:23]
	v_cvt_f32_f64_e32 v19, v[26:27]
	;; [unrolled: 1-line block ×4, first 2 shown]
	v_add_co_ci_u32_e32 v15, vcc_lo, s0, v9, vcc_lo
	v_cvt_f32_f64_e32 v22, v[50:51]
	v_cvt_f32_f64_e32 v23, v[30:31]
	;; [unrolled: 1-line block ×6, first 2 shown]
	v_add_co_u32 v28, vcc_lo, v14, s1
	v_add_co_ci_u32_e32 v29, vcc_lo, s0, v15, vcc_lo
	global_store_b64 v[56:57], v[0:1], off
	v_add_co_u32 v0, vcc_lo, v28, s1
	v_add_co_ci_u32_e32 v1, vcc_lo, s0, v29, vcc_lo
	global_store_b64 v[4:5], v[2:3], off
	;; [unrolled: 3-line block ×7, first 2 shown]
	global_store_b64 v[4:5], v[20:21], off
	global_store_b64 v[6:7], v[22:23], off
	global_store_b64 v[8:9], v[24:25], off
	global_store_b64 v[0:1], v[26:27], off
.LBB0_2:
	s_nop 0
	s_sendmsg sendmsg(MSG_DEALLOC_VGPRS)
	s_endpgm
	.section	.rodata,"a",@progbits
	.p2align	6, 0x0
	.amdhsa_kernel bluestein_single_back_len4000_dim1_sp_op_CI_CI
		.amdhsa_group_segment_fixed_size 32000
		.amdhsa_private_segment_fixed_size 0
		.amdhsa_kernarg_size 104
		.amdhsa_user_sgpr_count 15
		.amdhsa_user_sgpr_dispatch_ptr 0
		.amdhsa_user_sgpr_queue_ptr 0
		.amdhsa_user_sgpr_kernarg_segment_ptr 1
		.amdhsa_user_sgpr_dispatch_id 0
		.amdhsa_user_sgpr_private_segment_size 0
		.amdhsa_wavefront_size32 1
		.amdhsa_uses_dynamic_stack 0
		.amdhsa_enable_private_segment 0
		.amdhsa_system_sgpr_workgroup_id_x 1
		.amdhsa_system_sgpr_workgroup_id_y 0
		.amdhsa_system_sgpr_workgroup_id_z 0
		.amdhsa_system_sgpr_workgroup_info 0
		.amdhsa_system_vgpr_workitem_id 0
		.amdhsa_next_free_vgpr 255
		.amdhsa_next_free_sgpr 20
		.amdhsa_reserve_vcc 1
		.amdhsa_float_round_mode_32 0
		.amdhsa_float_round_mode_16_64 0
		.amdhsa_float_denorm_mode_32 3
		.amdhsa_float_denorm_mode_16_64 3
		.amdhsa_dx10_clamp 1
		.amdhsa_ieee_mode 1
		.amdhsa_fp16_overflow 0
		.amdhsa_workgroup_processor_mode 1
		.amdhsa_memory_ordered 1
		.amdhsa_forward_progress 0
		.amdhsa_shared_vgpr_count 0
		.amdhsa_exception_fp_ieee_invalid_op 0
		.amdhsa_exception_fp_denorm_src 0
		.amdhsa_exception_fp_ieee_div_zero 0
		.amdhsa_exception_fp_ieee_overflow 0
		.amdhsa_exception_fp_ieee_underflow 0
		.amdhsa_exception_fp_ieee_inexact 0
		.amdhsa_exception_int_div_zero 0
	.end_amdhsa_kernel
	.text
.Lfunc_end0:
	.size	bluestein_single_back_len4000_dim1_sp_op_CI_CI, .Lfunc_end0-bluestein_single_back_len4000_dim1_sp_op_CI_CI
                                        ; -- End function
	.section	.AMDGPU.csdata,"",@progbits
; Kernel info:
; codeLenInByte = 20988
; NumSgprs: 22
; NumVgprs: 255
; ScratchSize: 0
; MemoryBound: 0
; FloatMode: 240
; IeeeMode: 1
; LDSByteSize: 32000 bytes/workgroup (compile time only)
; SGPRBlocks: 2
; VGPRBlocks: 31
; NumSGPRsForWavesPerEU: 22
; NumVGPRsForWavesPerEU: 255
; Occupancy: 5
; WaveLimiterHint : 1
; COMPUTE_PGM_RSRC2:SCRATCH_EN: 0
; COMPUTE_PGM_RSRC2:USER_SGPR: 15
; COMPUTE_PGM_RSRC2:TRAP_HANDLER: 0
; COMPUTE_PGM_RSRC2:TGID_X_EN: 1
; COMPUTE_PGM_RSRC2:TGID_Y_EN: 0
; COMPUTE_PGM_RSRC2:TGID_Z_EN: 0
; COMPUTE_PGM_RSRC2:TIDIG_COMP_CNT: 0
	.text
	.p2alignl 7, 3214868480
	.fill 96, 4, 3214868480
	.type	__hip_cuid_9ef523c804ecb4ce,@object ; @__hip_cuid_9ef523c804ecb4ce
	.section	.bss,"aw",@nobits
	.globl	__hip_cuid_9ef523c804ecb4ce
__hip_cuid_9ef523c804ecb4ce:
	.byte	0                               ; 0x0
	.size	__hip_cuid_9ef523c804ecb4ce, 1

	.ident	"AMD clang version 19.0.0git (https://github.com/RadeonOpenCompute/llvm-project roc-6.4.0 25133 c7fe45cf4b819c5991fe208aaa96edf142730f1d)"
	.section	".note.GNU-stack","",@progbits
	.addrsig
	.addrsig_sym __hip_cuid_9ef523c804ecb4ce
	.amdgpu_metadata
---
amdhsa.kernels:
  - .args:
      - .actual_access:  read_only
        .address_space:  global
        .offset:         0
        .size:           8
        .value_kind:     global_buffer
      - .actual_access:  read_only
        .address_space:  global
        .offset:         8
        .size:           8
        .value_kind:     global_buffer
      - .actual_access:  read_only
        .address_space:  global
        .offset:         16
        .size:           8
        .value_kind:     global_buffer
      - .actual_access:  read_only
        .address_space:  global
        .offset:         24
        .size:           8
        .value_kind:     global_buffer
      - .actual_access:  read_only
        .address_space:  global
        .offset:         32
        .size:           8
        .value_kind:     global_buffer
      - .offset:         40
        .size:           8
        .value_kind:     by_value
      - .address_space:  global
        .offset:         48
        .size:           8
        .value_kind:     global_buffer
      - .address_space:  global
        .offset:         56
        .size:           8
        .value_kind:     global_buffer
      - .address_space:  global
        .offset:         64
        .size:           8
        .value_kind:     global_buffer
      - .address_space:  global
        .offset:         72
        .size:           8
        .value_kind:     global_buffer
      - .offset:         80
        .size:           4
        .value_kind:     by_value
      - .address_space:  global
        .offset:         88
        .size:           8
        .value_kind:     global_buffer
      - .address_space:  global
        .offset:         96
        .size:           8
        .value_kind:     global_buffer
    .group_segment_fixed_size: 32000
    .kernarg_segment_align: 8
    .kernarg_segment_size: 104
    .language:       OpenCL C
    .language_version:
      - 2
      - 0
    .max_flat_workgroup_size: 200
    .name:           bluestein_single_back_len4000_dim1_sp_op_CI_CI
    .private_segment_fixed_size: 0
    .sgpr_count:     22
    .sgpr_spill_count: 0
    .symbol:         bluestein_single_back_len4000_dim1_sp_op_CI_CI.kd
    .uniform_work_group_size: 1
    .uses_dynamic_stack: false
    .vgpr_count:     255
    .vgpr_spill_count: 0
    .wavefront_size: 32
    .workgroup_processor_mode: 1
amdhsa.target:   amdgcn-amd-amdhsa--gfx1100
amdhsa.version:
  - 1
  - 2
...

	.end_amdgpu_metadata
